;; amdgpu-corpus repo=ROCm/rocFFT kind=compiled arch=gfx950 opt=O3
	.text
	.amdgcn_target "amdgcn-amd-amdhsa--gfx950"
	.amdhsa_code_object_version 6
	.protected	bluestein_single_back_len4096_dim1_dp_op_CI_CI ; -- Begin function bluestein_single_back_len4096_dim1_dp_op_CI_CI
	.globl	bluestein_single_back_len4096_dim1_dp_op_CI_CI
	.p2align	8
	.type	bluestein_single_back_len4096_dim1_dp_op_CI_CI,@function
bluestein_single_back_len4096_dim1_dp_op_CI_CI: ; @bluestein_single_back_len4096_dim1_dp_op_CI_CI
; %bb.0:
	s_load_dwordx4 s[16:19], s[0:1], 0x28
	s_mov_b32 s3, 0
	s_waitcnt lgkmcnt(0)
	v_mov_b32_e32 v2, s16
	v_mov_b32_e32 v3, s17
	v_cmp_lt_u64_e32 vcc, s[2:3], v[2:3]
	s_and_saveexec_b64 s[4:5], vcc
	s_cbranch_execz .LBB0_2
; %bb.1:
	s_load_dwordx4 s[4:7], s[0:1], 0x18
	s_load_dwordx4 s[8:11], s[0:1], 0x0
	v_mov_b64_e32 v[222:223], s[2:3]
	v_mov_b32_e32 v2, s18
	v_mov_b32_e32 v3, s19
	s_waitcnt lgkmcnt(0)
	s_load_dwordx4 s[12:15], s[4:5], 0x0
	s_add_u32 s20, s8, 0x10000
	s_addc_u32 s21, s9, 0
	v_lshlrev_b32_e32 v1, 4, v0
	v_or_b32_e32 v209, 0x1000, v1
	s_waitcnt lgkmcnt(0)
	v_mad_u64_u32 v[4:5], s[2:3], s14, v222, 0
	v_mov_b32_e32 v6, v5
	v_mad_u64_u32 v[6:7], s[2:3], s15, v222, v[6:7]
	v_mov_b32_e32 v5, v6
	v_mad_u64_u32 v[6:7], s[2:3], s12, v0, 0
	v_mov_b32_e32 v8, v7
	v_mad_u64_u32 v[8:9], s[2:3], s13, v0, v[8:9]
	v_mov_b32_e32 v7, v8
	v_lshl_add_u64 v[2:3], v[4:5], 4, v[2:3]
	v_lshl_add_u64 v[6:7], v[6:7], 4, v[2:3]
	s_lshl_b64 s[2:3], s[12:13], 12
	global_load_dwordx4 v[66:69], v[6:7], off
	global_load_dwordx4 v[2:5], v1, s[8:9]
	v_lshl_add_u64 v[6:7], v[6:7], 0, s[2:3]
	global_load_dwordx4 v[70:73], v[6:7], off
	global_load_dwordx4 v[26:29], v209, s[8:9]
	v_lshl_add_u64 v[10:11], v[6:7], 0, s[2:3]
	global_load_dwordx4 v[74:77], v[10:11], off
	v_or_b32_e32 v210, 0x2000, v1
	v_lshl_add_u64 v[10:11], v[10:11], 0, s[2:3]
	v_or_b32_e32 v211, 0x3000, v1
	global_load_dwordx4 v[6:9], v210, s[8:9]
	global_load_dwordx4 v[42:45], v211, s[8:9]
	global_load_dwordx4 v[78:81], v[10:11], off
	v_lshl_add_u64 v[14:15], v[10:11], 0, s[2:3]
	global_load_dwordx4 v[82:85], v[14:15], off
	v_or_b32_e32 v208, 0x4000, v1
	global_load_dwordx4 v[10:13], v208, s[8:9]
	v_lshl_add_u64 v[14:15], v[14:15], 0, s[2:3]
	v_or_b32_e32 v207, 0x5000, v1
	global_load_dwordx4 v[86:89], v[14:15], off
	global_load_dwordx4 v[30:33], v207, s[8:9]
	v_lshl_add_u64 v[18:19], v[14:15], 0, s[2:3]
	v_or_b32_e32 v231, 0x6000, v1
	global_load_dwordx4 v[90:93], v[18:19], off
	global_load_dwordx4 v[14:17], v231, s[8:9]
	v_lshl_add_u64 v[18:19], v[18:19], 0, s[2:3]
	v_or_b32_e32 v233, 0x7000, v1
	global_load_dwordx4 v[34:37], v233, s[8:9]
	global_load_dwordx4 v[94:97], v[18:19], off
	v_or_b32_e32 v206, 0x8000, v1
	v_lshl_add_u64 v[22:23], v[18:19], 0, s[2:3]
	global_load_dwordx4 v[18:21], v206, s[8:9]
	global_load_dwordx4 v[98:101], v[22:23], off
	v_or_b32_e32 v24, 0x9000, v1
	v_lshl_add_u64 v[38:39], v[22:23], 0, s[2:3]
	;; [unrolled: 4-line block ×3, first 2 shown]
	v_or_b32_e32 v52, 0xc000, v1
	v_accvgpr_write_b32 a17, v24
	global_load_dwordx4 v[106:109], v[38:39], off
	v_lshl_add_u64 v[50:51], v[38:39], 0, s[2:3]
	global_load_dwordx4 v[38:41], v52, s[8:9]
	global_load_dwordx4 v[22:25], v255, s[8:9]
	v_or_b32_e32 v254, 0xb000, v1
	global_load_dwordx4 v[54:57], v254, s[8:9]
	global_load_dwordx4 v[110:113], v[50:51], off
	v_lshl_add_u64 v[50:51], v[50:51], 0, s[2:3]
	global_load_dwordx4 v[114:117], v[50:51], off
	v_or_b32_e32 v225, 0xd000, v1
	v_lshl_add_u64 v[62:63], v[50:51], 0, s[2:3]
	global_load_dwordx4 v[58:61], v225, s[8:9]
	global_load_dwordx4 v[118:121], v[62:63], off
	v_or_b32_e32 v230, 0xe000, v1
	v_lshl_add_u64 v[126:127], v[62:63], 0, s[2:3]
	v_accvgpr_write_b32 a16, v52
	global_load_dwordx4 v[50:53], v230, s[8:9]
	global_load_dwordx4 v[122:125], v[126:127], off
	v_or_b32_e32 v232, 0xf000, v1
	v_lshl_add_u64 v[126:127], v[126:127], 0, s[2:3]
	global_load_dwordx4 v[62:65], v232, s[8:9]
	s_load_dwordx4 s[4:7], s[6:7], 0x0
	global_load_dwordx4 v[126:129], v[126:127], off
	s_mov_b32 s2, 0x667f3bcd
	s_mov_b32 s3, 0xbfe6a09e
	s_mov_b32 s9, 0x3fe6a09e
	s_mov_b32 s8, s2
	s_mov_b32 s12, 0xa6aea964
	s_mov_b32 s16, 0xcf328d46
	s_mov_b32 s13, 0xbfd87de2
	s_mov_b32 s17, 0xbfed906b
	s_mov_b32 s19, 0x3fed906b
	s_mov_b32 s18, s16
	s_mov_b32 s15, 0x3fd87de2
	s_mov_b32 s14, s12
	v_lshlrev_b32_e32 v223, 8, v0
	s_movk_i32 s22, 0xf0
	s_load_dwordx2 s[0:1], s[0:1], 0x38
	s_waitcnt vmcnt(30)
	v_mul_f64 v[130:131], v[68:69], v[4:5]
	v_mul_f64 v[132:133], v[66:67], v[4:5]
	v_fmac_f64_e32 v[130:131], v[66:67], v[2:3]
	v_fma_f64 v[132:133], v[68:69], v[2:3], -v[132:133]
	s_waitcnt vmcnt(28)
	v_mul_f64 v[66:67], v[72:73], v[28:29]
	v_mul_f64 v[68:69], v[70:71], v[28:29]
	v_fmac_f64_e32 v[66:67], v[70:71], v[26:27]
	v_fma_f64 v[68:69], v[72:73], v[26:27], -v[68:69]
	ds_write_b128 v1, v[66:69] offset:4096
	s_waitcnt vmcnt(26)
	v_mul_f64 v[70:71], v[76:77], v[8:9]
	v_mul_f64 v[72:73], v[74:75], v[8:9]
	s_waitcnt vmcnt(24)
	v_mul_f64 v[66:67], v[80:81], v[44:45]
	v_mul_f64 v[68:69], v[78:79], v[44:45]
	v_fmac_f64_e32 v[66:67], v[78:79], v[42:43]
	v_fma_f64 v[68:69], v[80:81], v[42:43], -v[68:69]
	ds_write_b128 v1, v[66:69] offset:12288
	s_waitcnt vmcnt(22)
	v_mul_f64 v[66:67], v[84:85], v[12:13]
	v_mul_f64 v[68:69], v[82:83], v[12:13]
	v_fmac_f64_e32 v[66:67], v[82:83], v[10:11]
	v_fma_f64 v[68:69], v[84:85], v[10:11], -v[68:69]
	ds_write_b128 v1, v[66:69] offset:16384
	s_waitcnt vmcnt(20)
	v_mul_f64 v[66:67], v[88:89], v[32:33]
	v_mul_f64 v[68:69], v[86:87], v[32:33]
	v_fmac_f64_e32 v[66:67], v[86:87], v[30:31]
	v_fma_f64 v[68:69], v[88:89], v[30:31], -v[68:69]
	ds_write_b128 v1, v[66:69] offset:20480
	s_waitcnt vmcnt(18)
	v_mul_f64 v[66:67], v[92:93], v[16:17]
	v_mul_f64 v[68:69], v[90:91], v[16:17]
	v_fmac_f64_e32 v[66:67], v[90:91], v[14:15]
	v_fma_f64 v[68:69], v[92:93], v[14:15], -v[68:69]
	ds_write_b128 v1, v[66:69] offset:24576
	s_waitcnt vmcnt(16)
	v_mul_f64 v[66:67], v[96:97], v[36:37]
	v_mul_f64 v[68:69], v[94:95], v[36:37]
	v_fmac_f64_e32 v[66:67], v[94:95], v[34:35]
	v_fma_f64 v[68:69], v[96:97], v[34:35], -v[68:69]
	ds_write_b128 v1, v[66:69] offset:28672
	s_waitcnt vmcnt(14)
	v_mul_f64 v[66:67], v[100:101], v[20:21]
	v_mul_f64 v[68:69], v[98:99], v[20:21]
	v_fmac_f64_e32 v[66:67], v[98:99], v[18:19]
	v_fma_f64 v[68:69], v[100:101], v[18:19], -v[68:69]
	ds_write_b128 v1, v[66:69] offset:32768
	s_waitcnt vmcnt(12)
	v_mul_f64 v[66:67], v[104:105], v[48:49]
	v_mul_f64 v[68:69], v[102:103], v[48:49]
	v_fmac_f64_e32 v[66:67], v[102:103], v[46:47]
	v_fma_f64 v[68:69], v[104:105], v[46:47], -v[68:69]
	ds_write_b128 v1, v[66:69] offset:36864
	s_waitcnt vmcnt(9)
	v_mul_f64 v[66:67], v[108:109], v[24:25]
	v_mul_f64 v[68:69], v[106:107], v[24:25]
	v_fmac_f64_e32 v[66:67], v[106:107], v[22:23]
	v_fma_f64 v[68:69], v[108:109], v[22:23], -v[68:69]
	ds_write_b128 v1, v[66:69] offset:40960
	s_waitcnt vmcnt(7)
	v_mul_f64 v[66:67], v[112:113], v[56:57]
	v_mul_f64 v[68:69], v[110:111], v[56:57]
	v_fmac_f64_e32 v[66:67], v[110:111], v[54:55]
	v_fma_f64 v[68:69], v[112:113], v[54:55], -v[68:69]
	ds_write_b128 v1, v[66:69] offset:45056
	s_waitcnt vmcnt(6)
	v_mul_f64 v[66:67], v[116:117], v[40:41]
	v_mul_f64 v[68:69], v[114:115], v[40:41]
	v_fmac_f64_e32 v[66:67], v[114:115], v[38:39]
	v_fma_f64 v[68:69], v[116:117], v[38:39], -v[68:69]
	ds_write_b128 v1, v[66:69] offset:49152
	s_waitcnt vmcnt(4)
	v_mul_f64 v[66:67], v[120:121], v[60:61]
	v_mul_f64 v[68:69], v[118:119], v[60:61]
	v_fmac_f64_e32 v[66:67], v[118:119], v[58:59]
	v_fma_f64 v[68:69], v[120:121], v[58:59], -v[68:69]
	ds_write_b128 v1, v[66:69] offset:53248
	s_waitcnt vmcnt(2)
	v_mul_f64 v[66:67], v[124:125], v[52:53]
	v_mul_f64 v[68:69], v[122:123], v[52:53]
	v_fmac_f64_e32 v[66:67], v[122:123], v[50:51]
	v_fma_f64 v[68:69], v[124:125], v[50:51], -v[68:69]
	ds_write_b128 v1, v[66:69] offset:57344
	s_waitcnt vmcnt(0)
	v_mul_f64 v[66:67], v[128:129], v[64:65]
	v_mul_f64 v[68:69], v[126:127], v[64:65]
	v_fmac_f64_e32 v[70:71], v[74:75], v[6:7]
	v_fma_f64 v[72:73], v[76:77], v[6:7], -v[72:73]
	v_fmac_f64_e32 v[66:67], v[126:127], v[62:63]
	v_fma_f64 v[68:69], v[128:129], v[62:63], -v[68:69]
	ds_write_b128 v1, v[130:133]
	ds_write_b128 v1, v[70:73] offset:8192
	ds_write_b128 v1, v[66:69] offset:61440
	s_waitcnt lgkmcnt(0)
	s_barrier
	ds_read_b128 v[66:69], v1
	ds_read_b128 v[70:73], v1 offset:4096
	ds_read_b128 v[74:77], v1 offset:8192
	;; [unrolled: 1-line block ×15, first 2 shown]
	s_waitcnt lgkmcnt(7)
	v_add_f64 v[100:101], v[68:69], -v[100:101]
	s_waitcnt lgkmcnt(3)
	v_add_f64 v[116:117], v[84:85], -v[116:117]
	v_add_f64 v[106:107], v[74:75], -v[106:107]
	s_waitcnt lgkmcnt(1)
	v_add_f64 v[122:123], v[90:91], -v[122:123]
	v_add_f64 v[104:105], v[72:73], -v[104:105]
	;; [unrolled: 1-line block ×4, first 2 shown]
	s_waitcnt lgkmcnt(0)
	v_add_f64 v[126:127], v[94:95], -v[126:127]
	v_add_f64 v[98:99], v[66:67], -v[98:99]
	v_fma_f64 v[68:69], v[68:69], 2.0, -v[100:101]
	v_add_f64 v[114:115], v[82:83], -v[114:115]
	v_fma_f64 v[84:85], v[84:85], 2.0, -v[116:117]
	;; [unrolled: 2-line block ×8, first 2 shown]
	v_fma_f64 v[66:67], v[66:67], 2.0, -v[98:99]
	v_fma_f64 v[82:83], v[82:83], 2.0, -v[114:115]
	;; [unrolled: 1-line block ×8, first 2 shown]
	v_add_f64 v[84:85], v[68:69], -v[84:85]
	v_add_f64 v[90:91], v[74:75], -v[90:91]
	;; [unrolled: 1-line block ×6, first 2 shown]
	v_add_f64 v[114:115], v[100:101], v[114:115]
	v_add_f64 v[92:93], v[76:77], -v[92:93]
	v_add_f64 v[124:125], v[106:107], -v[124:125]
	v_add_f64 v[122:123], v[108:109], v[122:123]
	v_add_f64 v[86:87], v[70:71], -v[86:87]
	v_add_f64 v[118:119], v[104:105], v[118:119]
	;; [unrolled: 2-line block ×3, first 2 shown]
	v_add_f64 v[140:141], v[84:85], v[90:91]
	v_add_f64 v[148:149], v[88:89], v[94:95]
	v_fma_f64 v[98:99], v[98:99], 2.0, -v[116:117]
	v_fma_f64 v[100:101], v[100:101], 2.0, -v[114:115]
	;; [unrolled: 1-line block ×6, first 2 shown]
	v_add_f64 v[120:121], v[102:103], -v[120:121]
	v_add_f64 v[128:129], v[110:111], -v[128:129]
	;; [unrolled: 1-line block ×3, first 2 shown]
	v_fma_f64 v[92:93], v[84:85], 2.0, -v[140:141]
	v_fma_f64 v[142:143], s[8:9], v[124:125], v[116:117]
	v_fma_f64 v[144:145], s[8:9], v[122:123], v[114:115]
	v_add_f64 v[146:147], v[86:87], -v[96:97]
	v_fma_f64 v[88:89], v[88:89], 2.0, -v[148:149]
	v_fma_f64 v[152:153], s[8:9], v[126:127], v[118:119]
	v_fma_f64 v[66:67], v[66:67], 2.0, -v[82:83]
	v_fma_f64 v[68:69], v[68:69], 2.0, -v[84:85]
	;; [unrolled: 1-line block ×10, first 2 shown]
	v_fma_f64 v[134:135], s[2:3], v[106:107], v[98:99]
	v_fma_f64 v[136:137], s[2:3], v[108:109], v[100:101]
	v_fma_f64 v[90:91], v[82:83], 2.0, -v[138:139]
	v_fmac_f64_e32 v[142:143], s[2:3], v[122:123]
	v_fmac_f64_e32 v[144:145], s[8:9], v[124:125]
	v_fma_f64 v[86:87], v[86:87], 2.0, -v[146:147]
	v_fma_f64 v[150:151], s[8:9], v[128:129], v[120:121]
	v_fmac_f64_e32 v[152:153], s[8:9], v[128:129]
	v_fma_f64 v[84:85], s[2:3], v[88:89], v[92:93]
	v_add_f64 v[130:131], v[66:67], -v[74:75]
	v_add_f64 v[132:133], v[68:69], -v[76:77]
	v_fmac_f64_e32 v[134:135], s[2:3], v[108:109]
	v_fmac_f64_e32 v[136:137], s[8:9], v[106:107]
	v_fma_f64 v[106:107], v[116:117], 2.0, -v[142:143]
	v_fma_f64 v[108:109], v[114:115], 2.0, -v[144:145]
	v_add_f64 v[114:115], v[70:71], -v[78:79]
	v_add_f64 v[116:117], v[72:73], -v[80:81]
	v_fma_f64 v[122:123], s[2:3], v[110:111], v[102:103]
	v_fma_f64 v[124:125], s[2:3], v[112:113], v[104:105]
	v_fmac_f64_e32 v[150:151], s[2:3], v[126:127]
	v_fma_f64 v[96:97], v[118:119], 2.0, -v[152:153]
	v_fma_f64 v[82:83], s[2:3], v[86:87], v[90:91]
	v_fmac_f64_e32 v[84:85], s[8:9], v[86:87]
	v_fma_f64 v[74:75], v[66:67], 2.0, -v[130:131]
	v_fma_f64 v[76:77], v[68:69], 2.0, -v[132:133]
	v_fma_f64 v[66:67], v[70:71], 2.0, -v[114:115]
	v_fma_f64 v[68:69], v[72:73], 2.0, -v[116:117]
	v_fmac_f64_e32 v[122:123], s[2:3], v[112:113]
	v_fmac_f64_e32 v[124:125], s[8:9], v[110:111]
	v_fma_f64 v[94:95], v[120:121], 2.0, -v[150:151]
	v_fmac_f64_e32 v[82:83], s[2:3], v[88:89]
	v_fma_f64 v[88:89], v[92:93], 2.0, -v[84:85]
	v_fma_f64 v[92:93], s[12:13], v[96:97], v[108:109]
	v_fma_f64 v[98:99], v[98:99], 2.0, -v[134:135]
	v_fma_f64 v[100:101], v[100:101], 2.0, -v[136:137]
	;; [unrolled: 1-line block ×4, first 2 shown]
	v_add_f64 v[66:67], v[74:75], -v[66:67]
	v_add_f64 v[68:69], v[76:77], -v[68:69]
	v_fma_f64 v[86:87], v[90:91], 2.0, -v[82:83]
	v_fma_f64 v[90:91], s[12:13], v[94:95], v[106:107]
	v_fmac_f64_e32 v[92:93], s[18:19], v[94:95]
	v_fma_f64 v[70:71], v[74:75], 2.0, -v[66:67]
	v_fma_f64 v[72:73], v[76:77], 2.0, -v[68:69]
	v_fma_f64 v[74:75], s[16:17], v[78:79], v[98:99]
	v_fma_f64 v[76:77], s[16:17], v[80:81], v[100:101]
	v_fmac_f64_e32 v[90:91], s[16:17], v[96:97]
	v_fma_f64 v[96:97], v[108:109], 2.0, -v[92:93]
	v_fma_f64 v[108:109], s[14:15], v[124:125], v[136:137]
	v_fmac_f64_e32 v[74:75], s[12:13], v[80:81]
	v_fmac_f64_e32 v[76:77], s[14:15], v[78:79]
	v_fma_f64 v[94:95], v[106:107], 2.0, -v[90:91]
	v_fma_f64 v[106:107], s[14:15], v[122:123], v[134:135]
	v_fmac_f64_e32 v[108:109], s[18:19], v[122:123]
	v_fma_f64 v[122:123], s[18:19], v[150:151], v[142:143]
	v_fma_f64 v[78:79], v[98:99], 2.0, -v[74:75]
	v_fma_f64 v[80:81], v[100:101], 2.0, -v[76:77]
	v_add_f64 v[98:99], v[130:131], -v[116:117]
	v_add_f64 v[100:101], v[132:133], v[114:115]
	v_fmac_f64_e32 v[106:107], s[16:17], v[124:125]
	v_fma_f64 v[114:115], s[8:9], v[146:147], v[138:139]
	v_fma_f64 v[116:117], s[8:9], v[148:149], v[140:141]
	;; [unrolled: 1-line block ×3, first 2 shown]
	v_fmac_f64_e32 v[122:123], s[12:13], v[152:153]
	v_accvgpr_write_b32 a15, v5
	v_fmac_f64_e32 v[114:115], s[2:3], v[148:149]
	v_fmac_f64_e32 v[116:117], s[8:9], v[146:147]
	;; [unrolled: 1-line block ×3, first 2 shown]
	v_fma_f64 v[126:127], v[142:143], 2.0, -v[122:123]
	v_accvgpr_write_b32 a14, v4
	v_accvgpr_write_b32 a13, v3
	;; [unrolled: 1-line block ×3, first 2 shown]
	v_fma_f64 v[102:103], v[130:131], 2.0, -v[98:99]
	v_fma_f64 v[104:105], v[132:133], 2.0, -v[100:101]
	;; [unrolled: 1-line block ×7, first 2 shown]
	s_barrier
	ds_write_b128 v223, v[70:73]
	ds_write_b128 v223, v[78:81] offset:16
	ds_write_b128 v223, v[86:89] offset:32
	ds_write_b128 v223, v[94:97] offset:48
	ds_write_b128 v223, v[102:105] offset:64
	ds_write_b128 v223, v[110:113] offset:80
	ds_write_b128 v223, v[118:121] offset:96
	ds_write_b128 v223, v[126:129] offset:112
	ds_write_b128 v223, v[66:69] offset:128
	ds_write_b128 v223, v[74:77] offset:144
	ds_write_b128 v223, v[82:85] offset:160
	ds_write_b128 v223, v[90:93] offset:176
	ds_write_b128 v223, v[98:101] offset:192
	ds_write_b128 v223, v[106:109] offset:208
	ds_write_b128 v223, v[114:117] offset:224
	ds_write_b128 v223, v[122:125] offset:240
	v_and_b32_e32 v2, 15, v0
	v_mov_b64_e32 v[126:127], s[10:11]
	v_mad_u64_u32 v[114:115], s[10:11], v2, s22, v[126:127]
	s_waitcnt lgkmcnt(0)
	s_barrier
	global_load_dwordx4 v[78:81], v[114:115], off
	global_load_dwordx4 v[74:77], v[114:115], off offset:16
	global_load_dwordx4 v[70:73], v[114:115], off offset:32
	;; [unrolled: 1-line block ×13, first 2 shown]
	s_nop 0
	global_load_dwordx4 v[114:117], v[114:115], off offset:224
	ds_read_b128 v[128:131], v1
	ds_read_b128 v[132:135], v1 offset:4096
	ds_read_b128 v[136:139], v1 offset:8192
	ds_read_b128 v[140:143], v1 offset:12288
	ds_read_b128 v[144:147], v1 offset:16384
	ds_read_b128 v[148:151], v1 offset:20480
	ds_read_b128 v[152:155], v1 offset:24576
	ds_read_b128 v[156:159], v1 offset:28672
	ds_read_b128 v[160:163], v1 offset:32768
	ds_read_b128 v[164:167], v1 offset:36864
	ds_read_b128 v[168:171], v1 offset:40960
	ds_read_b128 v[172:175], v1 offset:45056
	ds_read_b128 v[176:179], v1 offset:49152
	ds_read_b128 v[180:183], v1 offset:53248
	ds_read_b128 v[184:187], v1 offset:57344
	ds_read_b128 v[188:191], v1 offset:61440
	s_movk_i32 s10, 0xf0f
	v_bitop3_b32 v2, v1, s10, v0 bitop3:0xc8
	v_lshlrev_b32_e32 v224, 4, v2
	v_mad_u64_u32 v[220:221], s[10:11], v0, s22, v[126:127]
	s_waitcnt lgkmcnt(0)
	s_barrier
	v_accvgpr_write_b32 a4, v10
	v_accvgpr_write_b32 a5, v11
	;; [unrolled: 1-line block ×12, first 2 shown]
	s_waitcnt vmcnt(14)
	v_mul_f64 v[192:193], v[134:135], v[80:81]
	v_fma_f64 v[192:193], v[132:133], v[78:79], -v[192:193]
	v_mul_f64 v[132:133], v[132:133], v[80:81]
	v_fmac_f64_e32 v[132:133], v[134:135], v[78:79]
	s_waitcnt vmcnt(13)
	v_mul_f64 v[134:135], v[138:139], v[76:77]
	v_fma_f64 v[134:135], v[136:137], v[74:75], -v[134:135]
	v_mul_f64 v[136:137], v[136:137], v[76:77]
	v_fmac_f64_e32 v[136:137], v[138:139], v[74:75]
	;; [unrolled: 5-line block ×15, first 2 shown]
	v_add_f64 v[158:159], v[128:129], -v[158:159]
	v_add_f64 v[160:161], v[130:131], -v[160:161]
	;; [unrolled: 1-line block ×16, first 2 shown]
	v_fma_f64 v[128:129], v[128:129], 2.0, -v[158:159]
	v_fma_f64 v[130:131], v[130:131], 2.0, -v[160:161]
	;; [unrolled: 1-line block ×16, first 2 shown]
	v_add_f64 v[176:177], v[158:159], -v[176:177]
	v_add_f64 v[174:175], v[160:161], v[174:175]
	v_add_f64 v[184:185], v[166:167], -v[184:185]
	v_add_f64 v[182:183], v[168:169], v[182:183]
	v_add_f64 v[142:143], v[128:129], -v[142:143]
	v_add_f64 v[144:145], v[130:131], -v[144:145]
	v_fma_f64 v[158:159], v[158:159], 2.0, -v[176:177]
	v_fma_f64 v[160:161], v[160:161], 2.0, -v[174:175]
	v_add_f64 v[150:151], v[134:135], -v[150:151]
	v_add_f64 v[152:153], v[136:137], -v[152:153]
	v_fma_f64 v[166:167], v[166:167], 2.0, -v[184:185]
	v_fma_f64 v[168:169], v[168:169], 2.0, -v[182:183]
	v_add_f64 v[146:147], v[190:191], -v[146:147]
	v_add_f64 v[148:149], v[132:133], -v[148:149]
	;; [unrolled: 1-line block ×6, first 2 shown]
	v_fma_f64 v[204:205], s[8:9], v[184:185], v[176:177]
	v_fma_f64 v[212:213], s[8:9], v[182:183], v[174:175]
	v_fma_f64 v[128:129], v[128:129], 2.0, -v[142:143]
	v_fma_f64 v[130:131], v[130:131], 2.0, -v[144:145]
	;; [unrolled: 1-line block ×6, first 2 shown]
	v_add_f64 v[178:179], v[164:165], v[178:179]
	v_fma_f64 v[162:163], v[162:163], 2.0, -v[180:181]
	v_fma_f64 v[138:139], v[138:139], 2.0, -v[154:155]
	;; [unrolled: 1-line block ×3, first 2 shown]
	v_add_f64 v[186:187], v[172:173], v[186:187]
	v_fma_f64 v[170:171], v[170:171], 2.0, -v[188:189]
	v_fma_f64 v[196:197], s[2:3], v[166:167], v[158:159]
	v_fma_f64 v[198:199], s[2:3], v[168:169], v[160:161]
	v_fmac_f64_e32 v[204:205], s[2:3], v[182:183]
	v_fmac_f64_e32 v[212:213], s[8:9], v[184:185]
	v_fma_f64 v[164:165], v[164:165], 2.0, -v[178:179]
	v_fma_f64 v[172:173], v[172:173], 2.0, -v[186:187]
	v_add_f64 v[192:193], v[128:129], -v[134:135]
	v_add_f64 v[194:195], v[130:131], -v[136:137]
	v_fmac_f64_e32 v[196:197], s[2:3], v[168:169]
	v_fmac_f64_e32 v[198:199], s[8:9], v[166:167]
	v_add_f64 v[202:203], v[144:145], v[150:151]
	v_fma_f64 v[166:167], v[176:177], 2.0, -v[204:205]
	v_fma_f64 v[168:169], v[174:175], 2.0, -v[212:213]
	v_add_f64 v[174:175], v[190:191], -v[138:139]
	v_add_f64 v[176:177], v[132:133], -v[140:141]
	v_fma_f64 v[182:183], s[2:3], v[170:171], v[162:163]
	v_add_f64 v[214:215], v[148:149], v[154:155]
	v_fma_f64 v[218:219], s[8:9], v[186:187], v[178:179]
	v_fma_f64 v[134:135], v[128:129], 2.0, -v[192:193]
	v_fma_f64 v[136:137], v[130:131], 2.0, -v[194:195]
	v_add_f64 v[200:201], v[142:143], -v[152:153]
	v_fma_f64 v[152:153], v[144:145], 2.0, -v[202:203]
	v_fma_f64 v[128:129], v[190:191], 2.0, -v[174:175]
	;; [unrolled: 1-line block ×3, first 2 shown]
	v_fma_f64 v[184:185], s[2:3], v[172:173], v[164:165]
	v_fmac_f64_e32 v[182:183], s[2:3], v[172:173]
	v_add_f64 v[190:191], v[146:147], -v[156:157]
	v_fma_f64 v[148:149], v[148:149], 2.0, -v[214:215]
	v_fma_f64 v[216:217], s[8:9], v[188:189], v[180:181]
	v_fmac_f64_e32 v[218:219], s[8:9], v[188:189]
	v_fma_f64 v[158:159], v[158:159], 2.0, -v[196:197]
	v_fma_f64 v[150:151], v[142:143], 2.0, -v[200:201]
	v_fmac_f64_e32 v[184:185], s[8:9], v[170:171]
	v_fma_f64 v[140:141], v[162:163], 2.0, -v[182:183]
	v_fma_f64 v[154:155], v[146:147], 2.0, -v[190:191]
	v_fmac_f64_e32 v[216:217], s[2:3], v[186:187]
	v_fma_f64 v[162:163], v[178:179], 2.0, -v[218:219]
	v_add_f64 v[128:129], v[134:135], -v[128:129]
	v_add_f64 v[130:131], v[136:137], -v[130:131]
	v_fma_f64 v[146:147], s[2:3], v[148:149], v[152:153]
	v_fma_f64 v[160:161], v[160:161], 2.0, -v[198:199]
	v_fma_f64 v[142:143], v[164:165], 2.0, -v[184:185]
	;; [unrolled: 1-line block ×5, first 2 shown]
	v_fma_f64 v[136:137], s[16:17], v[140:141], v[158:159]
	v_fma_f64 v[144:145], s[2:3], v[154:155], v[150:151]
	v_fmac_f64_e32 v[146:147], s[8:9], v[154:155]
	v_fma_f64 v[154:155], s[12:13], v[162:163], v[168:169]
	v_fma_f64 v[138:139], s[16:17], v[142:143], v[160:161]
	v_fmac_f64_e32 v[136:137], s[12:13], v[142:143]
	v_fmac_f64_e32 v[144:145], s[2:3], v[148:149]
	;; [unrolled: 1-line block ×4, first 2 shown]
	v_fma_f64 v[140:141], v[158:159], 2.0, -v[136:137]
	v_fma_f64 v[148:149], v[150:151], 2.0, -v[144:145]
	;; [unrolled: 1-line block ×3, first 2 shown]
	v_fma_f64 v[152:153], s[12:13], v[156:157], v[166:167]
	v_fma_f64 v[158:159], v[168:169], 2.0, -v[154:155]
	v_fma_f64 v[168:169], s[14:15], v[182:183], v[196:197]
	v_fma_f64 v[142:143], v[160:161], 2.0, -v[138:139]
	v_fmac_f64_e32 v[152:153], s[16:17], v[162:163]
	v_add_f64 v[160:161], v[192:193], -v[176:177]
	v_add_f64 v[162:163], v[194:195], v[174:175]
	v_fma_f64 v[170:171], s[14:15], v[184:185], v[198:199]
	v_fmac_f64_e32 v[168:169], s[16:17], v[184:185]
	v_fma_f64 v[176:177], s[8:9], v[190:191], v[200:201]
	v_fma_f64 v[178:179], s[8:9], v[214:215], v[202:203]
	;; [unrolled: 1-line block ×4, first 2 shown]
	v_fma_f64 v[156:157], v[166:167], 2.0, -v[152:153]
	v_fma_f64 v[164:165], v[192:193], 2.0, -v[160:161]
	;; [unrolled: 1-line block ×3, first 2 shown]
	v_fmac_f64_e32 v[170:171], s[18:19], v[182:183]
	v_fma_f64 v[172:173], v[196:197], 2.0, -v[168:169]
	v_fmac_f64_e32 v[176:177], s[2:3], v[214:215]
	v_fmac_f64_e32 v[178:179], s[8:9], v[190:191]
	;; [unrolled: 1-line block ×4, first 2 shown]
	v_fma_f64 v[174:175], v[198:199], 2.0, -v[170:171]
	v_fma_f64 v[180:181], v[200:201], 2.0, -v[176:177]
	;; [unrolled: 1-line block ×5, first 2 shown]
	ds_write_b128 v224, v[132:135]
	ds_write_b128 v224, v[140:143] offset:256
	ds_write_b128 v224, v[148:151] offset:512
	ds_write_b128 v224, v[156:159] offset:768
	ds_write_b128 v224, v[164:167] offset:1024
	ds_write_b128 v224, v[172:175] offset:1280
	ds_write_b128 v224, v[180:183] offset:1536
	ds_write_b128 v224, v[188:191] offset:1792
	ds_write_b128 v224, v[128:131] offset:2048
	ds_write_b128 v224, v[136:139] offset:2304
	ds_write_b128 v224, v[144:147] offset:2560
	ds_write_b128 v224, v[152:155] offset:2816
	ds_write_b128 v224, v[160:163] offset:3072
	ds_write_b128 v224, v[168:171] offset:3328
	ds_write_b128 v224, v[176:179] offset:3584
	ds_write_b128 v224, v[184:187] offset:3840
	s_waitcnt lgkmcnt(0)
	s_barrier
	global_load_dwordx4 v[138:141], v[220:221], off offset:3840
	global_load_dwordx4 v[134:137], v[220:221], off offset:3856
	;; [unrolled: 1-line block ×12, first 2 shown]
	ds_read_b128 v[174:177], v1 offset:4096
	ds_read_b128 v[178:181], v1 offset:8192
	;; [unrolled: 1-line block ×13, first 2 shown]
	s_waitcnt vmcnt(11) lgkmcnt(12)
	v_mul_f64 v[186:187], v[176:177], v[140:141]
	v_fma_f64 v[186:187], v[174:175], v[138:139], -v[186:187]
	v_mul_f64 v[188:189], v[174:175], v[140:141]
	s_waitcnt vmcnt(10) lgkmcnt(11)
	v_mul_f64 v[174:175], v[180:181], v[136:137]
	v_mul_f64 v[196:197], v[178:179], v[136:137]
	v_fma_f64 v[194:195], v[178:179], v[134:135], -v[174:175]
	v_fmac_f64_e32 v[196:197], v[180:181], v[134:135]
	global_load_dwordx4 v[178:181], v[220:221], off offset:4032
	s_waitcnt vmcnt(10) lgkmcnt(10)
	v_mul_f64 v[174:175], v[184:185], v[132:133]
	v_fma_f64 v[190:191], v[182:183], v[130:131], -v[174:175]
	s_waitcnt vmcnt(9) lgkmcnt(9)
	v_mul_f64 v[174:175], v[200:201], v[128:129]
	v_fma_f64 v[10:11], v[198:199], v[126:127], -v[174:175]
	s_waitcnt vmcnt(8) lgkmcnt(8)
	v_mul_f64 v[174:175], v[204:205], v[156:157]
	v_mul_f64 v[4:5], v[198:199], v[128:129]
	v_fma_f64 v[198:199], v[202:203], v[154:155], -v[174:175]
	s_waitcnt vmcnt(7) lgkmcnt(7)
	v_mul_f64 v[174:175], v[214:215], v[152:153]
	v_fma_f64 v[6:7], v[212:213], v[150:151], -v[174:175]
	s_waitcnt vmcnt(6) lgkmcnt(6)
	v_mul_f64 v[174:175], v[218:219], v[148:149]
	v_fmac_f64_e32 v[4:5], v[200:201], v[126:127]
	v_mul_f64 v[200:201], v[202:203], v[156:157]
	v_fma_f64 v[202:203], v[216:217], v[146:147], -v[174:175]
	s_waitcnt vmcnt(5) lgkmcnt(5)
	v_mul_f64 v[174:175], v[236:237], v[144:145]
	v_fmac_f64_e32 v[200:201], v[204:205], v[154:155]
	;; [unrolled: 5-line block ×6, first 2 shown]
	v_mul_f64 v[244:245], v[246:247], v[164:165]
	v_fma_f64 v[246:247], v[250:251], v[158:159], -v[174:175]
	v_fmac_f64_e32 v[188:189], v[176:177], v[138:139]
	v_fmac_f64_e32 v[244:245], v[248:249], v[162:163]
	v_mul_f64 v[248:249], v[250:251], v[160:161]
	v_mul_f64 v[192:193], v[182:183], v[132:133]
	;; [unrolled: 1-line block ×3, first 2 shown]
	v_fmac_f64_e32 v[192:193], v[184:185], v[130:131]
	v_fmac_f64_e32 v[8:9], v[214:215], v[150:151]
	;; [unrolled: 1-line block ×3, first 2 shown]
	v_add_f64 v[238:239], v[194:195], -v[238:239]
	v_add_f64 v[240:241], v[196:197], -v[240:241]
	v_fma_f64 v[194:195], v[194:195], 2.0, -v[238:239]
	v_fma_f64 v[196:197], v[196:197], 2.0, -v[240:241]
	v_add_f64 v[234:235], v[186:187], -v[234:235]
	v_add_f64 v[236:237], v[188:189], -v[236:237]
	v_add_f64 v[242:243], v[190:191], -v[242:243]
	v_add_f64 v[244:245], v[192:193], -v[244:245]
	v_fma_f64 v[186:187], v[186:187], 2.0, -v[234:235]
	v_fma_f64 v[188:189], v[188:189], 2.0, -v[236:237]
	;; [unrolled: 1-line block ×4, first 2 shown]
	s_waitcnt vmcnt(0) lgkmcnt(0)
	v_mul_f64 v[174:175], v[228:229], v[180:181]
	v_fma_f64 v[250:251], v[226:227], v[178:179], -v[174:175]
	global_load_dwordx4 v[174:177], v[220:221], off offset:4048
	ds_read_b128 v[182:185], v1 offset:57344
	ds_read_b128 v[212:215], v1 offset:61440
	v_mul_f64 v[226:227], v[226:227], v[180:181]
	v_fmac_f64_e32 v[226:227], v[228:229], v[178:179]
	v_add_f64 v[250:251], v[198:199], -v[250:251]
	v_add_f64 v[226:227], v[200:201], -v[226:227]
	v_fma_f64 v[198:199], v[198:199], 2.0, -v[250:251]
	v_fma_f64 v[200:201], v[200:201], 2.0, -v[226:227]
	v_add_f64 v[198:199], v[186:187], -v[198:199]
	v_add_f64 v[200:201], v[188:189], -v[200:201]
	v_fma_f64 v[186:187], v[186:187], 2.0, -v[198:199]
	v_fma_f64 v[188:189], v[188:189], 2.0, -v[200:201]
	v_add_f64 v[226:227], v[234:235], -v[226:227]
	s_waitcnt vmcnt(0) lgkmcnt(1)
	v_mul_f64 v[228:229], v[184:185], v[176:177]
	v_mul_f64 v[252:253], v[182:183], v[176:177]
	v_fma_f64 v[228:229], v[182:183], v[174:175], -v[228:229]
	v_fmac_f64_e32 v[252:253], v[184:185], v[174:175]
	global_load_dwordx4 v[182:185], v[220:221], off offset:4064
	v_add_f64 v[228:229], v[6:7], -v[228:229]
	v_fma_f64 v[6:7], v[6:7], 2.0, -v[228:229]
	v_add_f64 v[6:7], v[194:195], -v[6:7]
	v_fma_f64 v[194:195], v[194:195], 2.0, -v[6:7]
	v_add_f64 v[228:229], v[240:241], v[228:229]
	s_waitcnt vmcnt(0) lgkmcnt(0)
	v_mul_f64 v[220:221], v[214:215], v[184:185]
	v_mul_f64 v[2:3], v[212:213], v[184:185]
	v_fma_f64 v[220:221], v[212:213], v[182:183], -v[220:221]
	v_fmac_f64_e32 v[2:3], v[214:215], v[182:183]
	ds_read_b128 v[212:215], v1
	v_add_f64 v[220:221], v[202:203], -v[220:221]
	v_add_f64 v[14:15], v[204:205], -v[2:3]
	v_fma_f64 v[202:203], v[202:203], 2.0, -v[220:221]
	v_fma_f64 v[204:205], v[204:205], 2.0, -v[14:15]
	s_waitcnt lgkmcnt(0)
	v_add_f64 v[12:13], v[212:213], -v[216:217]
	v_add_f64 v[216:217], v[214:215], -v[218:219]
	;; [unrolled: 1-line block ×5, first 2 shown]
	v_fma_f64 v[212:213], v[212:213], 2.0, -v[12:13]
	v_fma_f64 v[214:215], v[214:215], 2.0, -v[216:217]
	;; [unrolled: 1-line block ×5, first 2 shown]
	v_add_f64 v[10:11], v[212:213], -v[10:11]
	v_add_f64 v[4:5], v[214:215], -v[4:5]
	;; [unrolled: 1-line block ×3, first 2 shown]
	v_fma_f64 v[212:213], v[212:213], 2.0, -v[10:11]
	v_fma_f64 v[214:215], v[214:215], 2.0, -v[4:5]
	;; [unrolled: 1-line block ×3, first 2 shown]
	v_add_f64 v[202:203], v[190:191], -v[202:203]
	v_add_f64 v[204:205], v[192:193], -v[204:205]
	v_fma_f64 v[190:191], v[190:191], 2.0, -v[202:203]
	v_fma_f64 v[192:193], v[192:193], 2.0, -v[204:205]
	v_add_f64 v[252:253], v[212:213], -v[194:195]
	v_add_f64 v[2:3], v[214:215], -v[196:197]
	v_fma_f64 v[16:17], v[212:213], 2.0, -v[252:253]
	v_fma_f64 v[194:195], v[214:215], 2.0, -v[2:3]
	v_add_f64 v[212:213], v[186:187], -v[190:191]
	v_add_f64 v[214:215], v[188:189], -v[192:193]
	v_fma_f64 v[186:187], v[186:187], 2.0, -v[212:213]
	v_fma_f64 v[188:189], v[188:189], 2.0, -v[214:215]
	v_add_f64 v[186:187], v[16:17], -v[186:187]
	v_add_f64 v[188:189], v[194:195], -v[188:189]
	v_fma_f64 v[190:191], v[16:17], 2.0, -v[186:187]
	v_fma_f64 v[192:193], v[194:195], 2.0, -v[188:189]
	v_add_f64 v[218:219], v[216:217], v[218:219]
	ds_write_b128 v1, v[190:193]
	v_add_f64 v[16:17], v[12:13], -v[246:247]
	v_fma_f64 v[190:191], v[216:217], 2.0, -v[218:219]
	v_add_f64 v[216:217], v[238:239], -v[248:249]
	v_fma_f64 v[194:195], v[240:241], 2.0, -v[228:229]
	v_fma_f64 v[12:13], v[12:13], 2.0, -v[16:17]
	v_fma_f64 v[192:193], v[238:239], 2.0, -v[216:217]
	v_fma_f64 v[240:241], s[2:3], v[194:195], v[190:191]
	v_add_f64 v[14:15], v[242:243], -v[14:15]
	v_fma_f64 v[238:239], s[2:3], v[192:193], v[12:13]
	v_fmac_f64_e32 v[240:241], s[8:9], v[192:193]
	v_add_f64 v[246:247], v[236:237], v[250:251]
	v_fma_f64 v[192:193], v[234:235], 2.0, -v[226:227]
	v_add_f64 v[220:221], v[244:245], v[220:221]
	v_fma_f64 v[196:197], v[242:243], 2.0, -v[14:15]
	v_fmac_f64_e32 v[238:239], s[2:3], v[194:195]
	v_fma_f64 v[194:195], v[236:237], 2.0, -v[246:247]
	v_fma_f64 v[234:235], v[244:245], 2.0, -v[220:221]
	v_fma_f64 v[236:237], s[2:3], v[196:197], v[192:193]
	v_fmac_f64_e32 v[236:237], s[2:3], v[234:235]
	v_fma_f64 v[234:235], s[2:3], v[234:235], v[194:195]
	v_fmac_f64_e32 v[234:235], s[8:9], v[196:197]
	v_fma_f64 v[12:13], v[12:13], 2.0, -v[238:239]
	v_fma_f64 v[242:243], v[192:193], 2.0, -v[236:237]
	;; [unrolled: 1-line block ×4, first 2 shown]
	v_fma_f64 v[190:191], s[16:17], v[242:243], v[12:13]
	v_fma_f64 v[192:193], s[16:17], v[194:195], v[196:197]
	v_fmac_f64_e32 v[190:191], s[12:13], v[194:195]
	v_fmac_f64_e32 v[192:193], s[14:15], v[242:243]
	v_fma_f64 v[194:195], v[12:13], 2.0, -v[190:191]
	v_add_f64 v[8:9], v[10:11], -v[8:9]
	v_add_f64 v[6:7], v[4:5], v[6:7]
	v_add_f64 v[12:13], v[198:199], -v[204:205]
	v_add_f64 v[242:243], v[200:201], v[202:203]
	v_fma_f64 v[196:197], v[196:197], 2.0, -v[192:193]
	v_fma_f64 v[10:11], v[10:11], 2.0, -v[8:9]
	;; [unrolled: 1-line block ×5, first 2 shown]
	ds_write_b128 v1, v[194:197] offset:4096
	v_fma_f64 v[194:195], s[2:3], v[198:199], v[10:11]
	v_fma_f64 v[196:197], s[2:3], v[200:201], v[4:5]
	v_fmac_f64_e32 v[194:195], s[2:3], v[200:201]
	v_fmac_f64_e32 v[196:197], s[8:9], v[198:199]
	v_fma_f64 v[244:245], s[8:9], v[14:15], v[226:227]
	v_fma_f64 v[198:199], v[10:11], 2.0, -v[194:195]
	v_fma_f64 v[200:201], v[4:5], 2.0, -v[196:197]
	v_fma_f64 v[4:5], s[8:9], v[216:217], v[16:17]
	v_fma_f64 v[10:11], s[8:9], v[228:229], v[218:219]
	v_fmac_f64_e32 v[244:245], s[2:3], v[220:221]
	v_fma_f64 v[220:221], s[8:9], v[220:221], v[246:247]
	v_fmac_f64_e32 v[4:5], s[2:3], v[228:229]
	v_fmac_f64_e32 v[10:11], s[8:9], v[216:217]
	;; [unrolled: 1-line block ×3, first 2 shown]
	v_fma_f64 v[14:15], v[16:17], 2.0, -v[4:5]
	v_fma_f64 v[16:17], v[218:219], 2.0, -v[10:11]
	;; [unrolled: 1-line block ×4, first 2 shown]
	ds_write_b128 v1, v[198:201] offset:8192
	v_fma_f64 v[198:199], s[12:13], v[202:203], v[14:15]
	v_fma_f64 v[200:201], s[12:13], v[204:205], v[16:17]
	v_fmac_f64_e32 v[198:199], s[16:17], v[204:205]
	v_fmac_f64_e32 v[200:201], s[18:19], v[202:203]
	v_fma_f64 v[202:203], v[14:15], 2.0, -v[198:199]
	v_fma_f64 v[204:205], v[16:17], 2.0, -v[200:201]
	ds_write_b128 v1, v[202:205] offset:12288
	v_add_f64 v[202:203], v[252:253], -v[214:215]
	v_add_f64 v[204:205], v[2:3], v[212:213]
	v_fma_f64 v[212:213], v[252:253], 2.0, -v[202:203]
	v_fma_f64 v[214:215], v[2:3], 2.0, -v[204:205]
	ds_write_b128 v1, v[212:215] offset:16384
	v_fma_f64 v[212:213], s[14:15], v[236:237], v[238:239]
	v_fma_f64 v[214:215], s[14:15], v[234:235], v[240:241]
	v_fmac_f64_e32 v[212:213], s[16:17], v[234:235]
	v_fmac_f64_e32 v[214:215], s[18:19], v[236:237]
	v_fma_f64 v[216:217], v[238:239], 2.0, -v[212:213]
	v_fma_f64 v[218:219], v[240:241], 2.0, -v[214:215]
	v_fma_f64 v[226:227], s[8:9], v[12:13], v[8:9]
	v_fma_f64 v[228:229], s[8:9], v[242:243], v[6:7]
	;; [unrolled: 1-line block ×4, first 2 shown]
	v_fmac_f64_e32 v[226:227], s[2:3], v[242:243]
	v_fmac_f64_e32 v[228:229], s[8:9], v[12:13]
	;; [unrolled: 1-line block ×4, first 2 shown]
	v_fma_f64 v[234:235], v[8:9], 2.0, -v[226:227]
	v_fma_f64 v[236:237], v[6:7], 2.0, -v[228:229]
	;; [unrolled: 1-line block ×4, first 2 shown]
	ds_write_b128 v1, v[216:219] offset:20480
	ds_write_b128 v1, v[234:237] offset:24576
	;; [unrolled: 1-line block ×11, first 2 shown]
	s_waitcnt lgkmcnt(0)
	s_barrier
	global_load_dwordx4 v[202:205], v1, s[20:21]
	global_load_dwordx4 v[218:221], v209, s[20:21]
	;; [unrolled: 1-line block ×3, first 2 shown]
	s_nop 0
	global_load_dwordx4 v[210:213], v211, s[20:21]
	s_nop 0
	global_load_dwordx4 v[186:189], v208, s[20:21]
	global_load_dwordx4 v[198:201], v207, s[20:21]
	;; [unrolled: 1-line block ×4, first 2 shown]
	ds_read_b128 v[226:229], v1
	ds_read_b128 v[234:237], v1 offset:4096
	global_load_dwordx4 v[206:209], v206, s[20:21]
	ds_read_b128 v[242:245], v1 offset:8192
	s_waitcnt vmcnt(8) lgkmcnt(2)
	v_mul_f64 v[2:3], v[228:229], v[204:205]
	v_fma_f64 v[238:239], v[226:227], v[202:203], -v[2:3]
	v_mul_f64 v[240:241], v[226:227], v[204:205]
	v_accvgpr_read_b32 v2, a17
	v_fmac_f64_e32 v[240:241], v[228:229], v[202:203]
	global_load_dwordx4 v[202:205], v2, s[20:21]
	s_waitcnt vmcnt(8) lgkmcnt(1)
	v_mul_f64 v[2:3], v[236:237], v[220:221]
	v_mul_f64 v[228:229], v[234:235], v[220:221]
	v_fma_f64 v[226:227], v[234:235], v[218:219], -v[2:3]
	v_fmac_f64_e32 v[228:229], v[236:237], v[218:219]
	ds_read_b128 v[234:237], v1 offset:12288
	global_load_dwordx4 v[218:221], v255, s[20:21]
	s_waitcnt vmcnt(8) lgkmcnt(1)
	v_mul_f64 v[2:3], v[244:245], v[216:217]
	v_mul_f64 v[248:249], v[242:243], v[216:217]
	v_fma_f64 v[246:247], v[242:243], v[214:215], -v[2:3]
	v_fmac_f64_e32 v[248:249], v[244:245], v[214:215]
	global_load_dwordx4 v[214:217], v254, s[20:21]
	s_waitcnt vmcnt(8) lgkmcnt(0)
	v_mul_f64 v[2:3], v[236:237], v[212:213]
	v_fma_f64 v[242:243], v[234:235], v[210:211], -v[2:3]
	v_mul_f64 v[244:245], v[234:235], v[212:213]
	v_accvgpr_read_b32 v2, a16
	v_fmac_f64_e32 v[244:245], v[236:237], v[210:211]
	global_load_dwordx4 v[210:213], v2, s[20:21]
	global_load_dwordx4 v[234:237], v225, s[20:21]
	;; [unrolled: 1-line block ×3, first 2 shown]
	ds_write_b128 v1, v[226:229] offset:4096
	global_load_dwordx4 v[230:233], v232, s[20:21]
	ds_read_b128 v[226:229], v1 offset:16384
	ds_write_b128 v1, v[238:241]
	ds_write_b128 v1, v[246:249] offset:8192
	ds_write_b128 v1, v[242:245] offset:12288
	ds_read_b128 v[238:241], v1 offset:20480
	s_waitcnt vmcnt(11) lgkmcnt(4)
	v_mul_f64 v[2:3], v[228:229], v[188:189]
	v_mul_f64 v[244:245], v[226:227], v[188:189]
	v_fma_f64 v[242:243], v[226:227], v[186:187], -v[2:3]
	v_fmac_f64_e32 v[244:245], v[228:229], v[186:187]
	ds_read_b128 v[226:229], v1 offset:24576
	s_waitcnt vmcnt(10) lgkmcnt(1)
	v_mul_f64 v[2:3], v[240:241], v[200:201]
	v_mul_f64 v[188:189], v[238:239], v[200:201]
	v_fma_f64 v[186:187], v[238:239], v[198:199], -v[2:3]
	v_fmac_f64_e32 v[188:189], v[240:241], v[198:199]
	ds_write_b128 v1, v[186:189] offset:20480
	ds_read_b128 v[186:189], v1 offset:28672
	s_waitcnt vmcnt(9) lgkmcnt(2)
	v_mul_f64 v[2:3], v[228:229], v[196:197]
	v_mul_f64 v[200:201], v[226:227], v[196:197]
	v_fma_f64 v[198:199], v[226:227], v[194:195], -v[2:3]
	v_fmac_f64_e32 v[200:201], v[228:229], v[194:195]
	ds_write_b128 v1, v[198:201] offset:24576
	ds_read_b128 v[198:201], v1 offset:32768
	s_waitcnt vmcnt(8) lgkmcnt(2)
	v_mul_f64 v[2:3], v[188:189], v[192:193]
	v_mul_f64 v[196:197], v[186:187], v[192:193]
	v_fma_f64 v[194:195], v[186:187], v[190:191], -v[2:3]
	v_fmac_f64_e32 v[196:197], v[188:189], v[190:191]
	ds_read_b128 v[186:189], v1 offset:36864
	s_waitcnt vmcnt(7) lgkmcnt(1)
	v_mul_f64 v[2:3], v[200:201], v[208:209]
	v_mul_f64 v[192:193], v[198:199], v[208:209]
	ds_write_b128 v1, v[194:197] offset:28672
	v_fma_f64 v[190:191], v[198:199], v[206:207], -v[2:3]
	v_fmac_f64_e32 v[192:193], v[200:201], v[206:207]
	ds_read_b128 v[194:197], v1 offset:40960
	ds_write_b128 v1, v[190:193] offset:32768
	ds_write_b128 v1, v[242:245] offset:16384
	s_waitcnt vmcnt(6) lgkmcnt(4)
	v_mul_f64 v[2:3], v[188:189], v[204:205]
	v_mul_f64 v[192:193], v[186:187], v[204:205]
	v_fma_f64 v[190:191], v[186:187], v[202:203], -v[2:3]
	v_fmac_f64_e32 v[192:193], v[188:189], v[202:203]
	ds_read_b128 v[186:189], v1 offset:45056
	ds_write_b128 v1, v[190:193] offset:36864
	s_waitcnt vmcnt(5) lgkmcnt(4)
	v_mul_f64 v[2:3], v[196:197], v[220:221]
	v_mul_f64 v[192:193], v[194:195], v[220:221]
	v_fma_f64 v[190:191], v[194:195], v[218:219], -v[2:3]
	v_fmac_f64_e32 v[192:193], v[196:197], v[218:219]
	ds_read_b128 v[194:197], v1 offset:49152
	;; [unrolled: 7-line block ×5, first 2 shown]
	ds_write_b128 v1, v[190:193] offset:53248
	s_waitcnt vmcnt(1) lgkmcnt(3)
	v_mul_f64 v[2:3], v[196:197], v[252:253]
	v_mul_f64 v[192:193], v[194:195], v[252:253]
	v_fma_f64 v[190:191], v[194:195], v[250:251], -v[2:3]
	v_fmac_f64_e32 v[192:193], v[196:197], v[250:251]
	ds_write_b128 v1, v[190:193] offset:57344
	s_waitcnt vmcnt(0) lgkmcnt(2)
	v_mul_f64 v[2:3], v[188:189], v[232:233]
	v_mul_f64 v[192:193], v[186:187], v[232:233]
	v_fma_f64 v[190:191], v[186:187], v[230:231], -v[2:3]
	v_fmac_f64_e32 v[192:193], v[188:189], v[230:231]
	ds_write_b128 v1, v[190:193] offset:61440
	s_waitcnt lgkmcnt(0)
	s_barrier
	ds_read_b128 v[186:189], v1
	ds_read_b128 v[190:193], v1 offset:4096
	ds_read_b128 v[194:197], v1 offset:8192
	;; [unrolled: 1-line block ×13, first 2 shown]
	s_waitcnt lgkmcnt(5)
	v_add_f64 v[2:3], v[186:187], -v[218:219]
	v_add_f64 v[4:5], v[188:189], -v[220:221]
	v_fma_f64 v[6:7], v[186:187], 2.0, -v[2:3]
	v_fma_f64 v[8:9], v[188:189], 2.0, -v[4:5]
	s_waitcnt lgkmcnt(1)
	v_add_f64 v[10:11], v[202:203], -v[238:239]
	v_add_f64 v[12:13], v[204:205], -v[240:241]
	v_add_f64 v[218:219], v[194:195], -v[230:231]
	ds_read_b128 v[186:189], v1 offset:57344
	v_add_f64 v[220:221], v[196:197], -v[232:233]
	v_fma_f64 v[14:15], v[202:203], 2.0, -v[10:11]
	v_fma_f64 v[16:17], v[204:205], 2.0, -v[12:13]
	;; [unrolled: 1-line block ×4, first 2 shown]
	ds_read_b128 v[194:197], v1 offset:61440
	s_waitcnt lgkmcnt(1)
	v_add_f64 v[230:231], v[210:211], -v[186:187]
	v_add_f64 v[232:233], v[212:213], -v[188:189]
	v_fma_f64 v[186:187], v[210:211], 2.0, -v[230:231]
	v_fma_f64 v[188:189], v[212:213], 2.0, -v[232:233]
	v_add_f64 v[210:211], v[190:191], -v[226:227]
	v_add_f64 v[212:213], v[192:193], -v[228:229]
	;; [unrolled: 1-line block ×6, first 2 shown]
	s_waitcnt lgkmcnt(0)
	v_add_f64 v[242:243], v[214:215], -v[194:195]
	v_add_f64 v[244:245], v[216:217], -v[196:197]
	v_fma_f64 v[190:191], v[190:191], 2.0, -v[210:211]
	v_fma_f64 v[192:193], v[192:193], 2.0, -v[212:213]
	;; [unrolled: 1-line block ×8, first 2 shown]
	v_add_f64 v[198:199], v[202:203], -v[186:187]
	v_add_f64 v[200:201], v[204:205], -v[188:189]
	v_add_f64 v[194:195], v[6:7], -v[14:15]
	v_add_f64 v[196:197], v[8:9], -v[16:17]
	v_fma_f64 v[14:15], v[202:203], 2.0, -v[198:199]
	v_fma_f64 v[16:17], v[204:205], 2.0, -v[200:201]
	v_add_f64 v[202:203], v[190:191], -v[206:207]
	v_add_f64 v[204:205], v[192:193], -v[208:209]
	;; [unrolled: 1-line block ×4, first 2 shown]
	v_fma_f64 v[6:7], v[6:7], 2.0, -v[194:195]
	v_fma_f64 v[8:9], v[8:9], 2.0, -v[196:197]
	;; [unrolled: 1-line block ×6, first 2 shown]
	v_add_f64 v[190:191], v[6:7], -v[14:15]
	v_add_f64 v[192:193], v[8:9], -v[16:17]
	;; [unrolled: 1-line block ×4, first 2 shown]
	v_fma_f64 v[6:7], v[6:7], 2.0, -v[190:191]
	v_fma_f64 v[8:9], v[8:9], 2.0, -v[192:193]
	;; [unrolled: 1-line block ×4, first 2 shown]
	v_add_f64 v[186:187], v[6:7], -v[186:187]
	v_add_f64 v[188:189], v[8:9], -v[188:189]
	v_fma_f64 v[206:207], v[6:7], 2.0, -v[186:187]
	v_fma_f64 v[208:209], v[8:9], 2.0, -v[188:189]
	v_add_f64 v[6:7], v[2:3], v[12:13]
	v_add_f64 v[8:9], v[4:5], -v[10:11]
	v_add_f64 v[10:11], v[218:219], v[232:233]
	v_add_f64 v[12:13], v[220:221], -v[230:231]
	s_barrier
	ds_write_b128 v223, v[206:209]
	v_fma_f64 v[206:207], v[218:219], 2.0, -v[10:11]
	v_fma_f64 v[208:209], v[220:221], 2.0, -v[12:13]
	v_add_f64 v[218:219], v[210:211], v[228:229]
	v_add_f64 v[220:221], v[212:213], -v[226:227]
	v_add_f64 v[226:227], v[234:235], v[244:245]
	v_fma_f64 v[250:251], s[8:9], v[10:11], v[6:7]
	v_fma_f64 v[2:3], v[2:3], 2.0, -v[6:7]
	v_fma_f64 v[210:211], v[210:211], 2.0, -v[218:219]
	v_add_f64 v[228:229], v[236:237], -v[242:243]
	v_fma_f64 v[230:231], v[234:235], 2.0, -v[226:227]
	v_fmac_f64_e32 v[250:251], s[8:9], v[12:13]
	v_fma_f64 v[12:13], s[8:9], v[12:13], v[8:9]
	v_fma_f64 v[4:5], v[4:5], 2.0, -v[8:9]
	v_fma_f64 v[212:213], v[212:213], 2.0, -v[220:221]
	;; [unrolled: 1-line block ×3, first 2 shown]
	v_fma_f64 v[234:235], s[2:3], v[206:207], v[2:3]
	v_fmac_f64_e32 v[12:13], s[2:3], v[10:11]
	v_fma_f64 v[10:11], s[2:3], v[230:231], v[210:211]
	v_fmac_f64_e32 v[234:235], s[8:9], v[208:209]
	;; [unrolled: 2-line block ×4, first 2 shown]
	v_fma_f64 v[2:3], v[2:3], 2.0, -v[234:235]
	v_fmac_f64_e32 v[238:239], s[2:3], v[230:231]
	v_fma_f64 v[210:211], v[210:211], 2.0, -v[10:11]
	v_fma_f64 v[4:5], v[4:5], 2.0, -v[236:237]
	;; [unrolled: 1-line block ×3, first 2 shown]
	v_fma_f64 v[206:207], s[16:17], v[210:211], v[2:3]
	v_add_f64 v[242:243], v[194:195], v[200:201]
	v_add_f64 v[246:247], v[202:203], v[216:217]
	v_fma_f64 v[252:253], s[8:9], v[226:227], v[218:219]
	v_fma_f64 v[254:255], s[8:9], v[228:229], v[220:221]
	;; [unrolled: 1-line block ×3, first 2 shown]
	v_fmac_f64_e32 v[206:207], s[14:15], v[212:213]
	v_add_f64 v[244:245], v[196:197], -v[198:199]
	v_fma_f64 v[212:213], v[194:195], 2.0, -v[242:243]
	v_add_f64 v[248:249], v[204:205], -v[214:215]
	v_fma_f64 v[202:203], v[202:203], 2.0, -v[246:247]
	v_fmac_f64_e32 v[252:253], s[8:9], v[228:229]
	v_fmac_f64_e32 v[254:255], s[2:3], v[226:227]
	v_fma_f64 v[226:227], v[196:197], 2.0, -v[244:245]
	v_fma_f64 v[204:205], v[204:205], 2.0, -v[248:249]
	v_fmac_f64_e32 v[208:209], s[12:13], v[210:211]
	v_fma_f64 v[198:199], s[2:3], v[202:203], v[212:213]
	v_fma_f64 v[194:195], v[2:3], 2.0, -v[206:207]
	v_fma_f64 v[196:197], v[4:5], 2.0, -v[208:209]
	v_fma_f64 v[200:201], s[2:3], v[204:205], v[226:227]
	v_fmac_f64_e32 v[198:199], s[8:9], v[204:205]
	v_fma_f64 v[2:3], v[6:7], 2.0, -v[250:251]
	v_fma_f64 v[4:5], v[8:9], 2.0, -v[12:13]
	;; [unrolled: 1-line block ×4, first 2 shown]
	v_fma_f64 v[230:231], s[14:15], v[10:11], v[234:235]
	v_fmac_f64_e32 v[200:201], s[2:3], v[202:203]
	v_fma_f64 v[202:203], v[212:213], 2.0, -v[198:199]
	v_fma_f64 v[210:211], s[12:13], v[6:7], v[2:3]
	v_fma_f64 v[212:213], s[12:13], v[8:9], v[4:5]
	;; [unrolled: 1-line block ×3, first 2 shown]
	v_fmac_f64_e32 v[230:231], s[18:19], v[238:239]
	v_fma_f64 v[238:239], s[8:9], v[246:247], v[242:243]
	v_fma_f64 v[240:241], s[8:9], v[248:249], v[244:245]
	v_fmac_f64_e32 v[210:211], s[18:19], v[8:9]
	v_fmac_f64_e32 v[212:213], s[16:17], v[6:7]
	v_add_f64 v[218:219], v[190:191], v[16:17]
	v_add_f64 v[220:221], v[192:193], -v[14:15]
	v_fmac_f64_e32 v[232:233], s[16:17], v[10:11]
	v_fmac_f64_e32 v[238:239], s[8:9], v[248:249]
	;; [unrolled: 1-line block ×3, first 2 shown]
	v_fma_f64 v[246:247], s[18:19], v[252:253], v[250:251]
	v_fma_f64 v[248:249], s[18:19], v[254:255], v[12:13]
	v_fma_f64 v[204:205], v[226:227], 2.0, -v[200:201]
	v_fma_f64 v[214:215], v[2:3], 2.0, -v[210:211]
	;; [unrolled: 1-line block ×9, first 2 shown]
	v_fmac_f64_e32 v[246:247], s[14:15], v[254:255]
	v_fmac_f64_e32 v[248:249], s[12:13], v[252:253]
	ds_write_b128 v223, v[194:197] offset:16
	v_fma_f64 v[250:251], v[250:251], 2.0, -v[246:247]
	v_fma_f64 v[252:253], v[12:13], 2.0, -v[248:249]
	ds_write_b128 v223, v[202:205] offset:32
	ds_write_b128 v223, v[214:217] offset:48
	ds_write_b128 v223, v[226:229] offset:64
	ds_write_b128 v223, v[234:237] offset:80
	ds_write_b128 v223, v[242:245] offset:96
	ds_write_b128 v223, v[250:253] offset:112
	ds_write_b128 v223, v[186:189] offset:128
	ds_write_b128 v223, v[206:209] offset:144
	ds_write_b128 v223, v[198:201] offset:160
	ds_write_b128 v223, v[210:213] offset:176
	ds_write_b128 v223, v[218:221] offset:192
	ds_write_b128 v223, v[230:233] offset:208
	ds_write_b128 v223, v[238:241] offset:224
	ds_write_b128 v223, v[246:249] offset:240
	s_waitcnt lgkmcnt(0)
	s_barrier
	ds_read_b128 v[186:189], v1
	ds_read_b128 v[196:199], v1 offset:4096
	ds_read_b128 v[200:203], v1 offset:8192
	;; [unrolled: 1-line block ×11, first 2 shown]
	s_waitcnt lgkmcnt(7)
	v_mul_f64 v[14:15], v[68:69], v[210:211]
	v_mul_f64 v[16:17], v[68:69], v[208:209]
	v_fmac_f64_e32 v[14:15], v[66:67], v[208:209]
	v_fma_f64 v[16:17], v[66:67], v[210:211], -v[16:17]
	s_waitcnt lgkmcnt(6)
	v_mul_f64 v[66:67], v[96:97], v[214:215]
	v_mul_f64 v[68:69], v[96:97], v[212:213]
	v_fmac_f64_e32 v[66:67], v[94:95], v[212:213]
	v_fma_f64 v[68:69], v[94:95], v[214:215], -v[68:69]
	s_waitcnt lgkmcnt(5)
	v_mul_f64 v[94:95], v[92:93], v[218:219]
	v_mul_f64 v[92:93], v[92:93], v[216:217]
	v_mul_f64 v[2:3], v[80:81], v[198:199]
	v_mul_f64 v[4:5], v[80:81], v[196:197]
	v_fmac_f64_e32 v[94:95], v[90:91], v[216:217]
	v_fma_f64 v[90:91], v[90:91], v[218:219], -v[92:93]
	s_waitcnt lgkmcnt(4)
	v_mul_f64 v[92:93], v[88:89], v[228:229]
	v_mul_f64 v[88:89], v[88:89], v[226:227]
	v_fmac_f64_e32 v[2:3], v[78:79], v[196:197]
	v_fma_f64 v[4:5], v[78:79], v[198:199], -v[4:5]
	ds_read_b128 v[78:81], v1 offset:49152
	ds_read_b128 v[196:199], v1 offset:53248
	v_mul_f64 v[6:7], v[76:77], v[202:203]
	v_mul_f64 v[8:9], v[76:77], v[200:201]
	;; [unrolled: 1-line block ×4, first 2 shown]
	v_fmac_f64_e32 v[92:93], v[86:87], v[226:227]
	v_fma_f64 v[86:87], v[86:87], v[228:229], -v[88:89]
	s_waitcnt lgkmcnt(5)
	v_mul_f64 v[88:89], v[84:85], v[232:233]
	v_mul_f64 v[84:85], v[84:85], v[230:231]
	v_fmac_f64_e32 v[6:7], v[74:75], v[200:201]
	v_fma_f64 v[8:9], v[74:75], v[202:203], -v[8:9]
	v_fmac_f64_e32 v[10:11], v[70:71], v[204:205]
	v_fma_f64 v[12:13], v[70:71], v[206:207], -v[12:13]
	ds_read_b128 v[70:73], v1 offset:57344
	ds_read_b128 v[74:77], v1 offset:61440
	v_fmac_f64_e32 v[88:89], v[82:83], v[230:231]
	v_fma_f64 v[82:83], v[82:83], v[232:233], -v[84:85]
	s_waitcnt lgkmcnt(6)
	v_mul_f64 v[84:85], v[112:113], v[236:237]
	v_mul_f64 v[96:97], v[112:113], v[234:235]
	v_fmac_f64_e32 v[84:85], v[110:111], v[234:235]
	v_fma_f64 v[96:97], v[110:111], v[236:237], -v[96:97]
	s_waitcnt lgkmcnt(5)
	v_mul_f64 v[110:111], v[108:109], v[240:241]
	v_mul_f64 v[108:109], v[108:109], v[238:239]
	;; [unrolled: 5-line block ×3, first 2 shown]
	v_fmac_f64_e32 v[108:109], v[102:103], v[242:243]
	v_fma_f64 v[102:103], v[102:103], v[244:245], -v[104:105]
	s_waitcnt lgkmcnt(3)
	v_mul_f64 v[104:105], v[100:101], v[80:81]
	v_fmac_f64_e32 v[104:105], v[98:99], v[78:79]
	v_mul_f64 v[78:79], v[100:101], v[78:79]
	s_waitcnt lgkmcnt(1)
	v_mul_f64 v[100:101], v[120:121], v[72:73]
	v_fmac_f64_e32 v[100:101], v[118:119], v[70:71]
	v_mul_f64 v[70:71], v[120:121], v[70:71]
	v_fma_f64 v[70:71], v[118:119], v[72:73], -v[70:71]
	s_waitcnt lgkmcnt(0)
	v_mul_f64 v[72:73], v[116:117], v[76:77]
	v_fma_f64 v[78:79], v[98:99], v[80:81], -v[78:79]
	v_mul_f64 v[98:99], v[124:125], v[196:197]
	v_fmac_f64_e32 v[72:73], v[114:115], v[74:75]
	v_mul_f64 v[74:75], v[116:117], v[74:75]
	v_mul_f64 v[80:81], v[124:125], v[198:199]
	v_fma_f64 v[98:99], v[122:123], v[198:199], -v[98:99]
	v_fma_f64 v[74:75], v[114:115], v[76:77], -v[74:75]
	v_add_f64 v[82:83], v[188:189], -v[82:83]
	v_add_f64 v[104:105], v[14:15], -v[104:105]
	;; [unrolled: 1-line block ×4, first 2 shown]
	v_fmac_f64_e32 v[80:81], v[122:123], v[196:197]
	v_add_f64 v[76:77], v[186:187], -v[88:89]
	v_add_f64 v[78:79], v[16:17], -v[78:79]
	v_fma_f64 v[14:15], v[14:15], 2.0, -v[104:105]
	v_add_f64 v[110:111], v[6:7], -v[110:111]
	v_add_f64 v[70:71], v[90:91], -v[70:71]
	v_fma_f64 v[94:95], v[94:95], 2.0, -v[100:101]
	v_add_f64 v[84:85], v[2:3], -v[84:85]
	v_add_f64 v[98:99], v[68:69], -v[98:99]
	;; [unrolled: 1-line block ×6, first 2 shown]
	v_fma_f64 v[112:113], v[188:189], 2.0, -v[82:83]
	v_fma_f64 v[16:17], v[16:17], 2.0, -v[78:79]
	;; [unrolled: 1-line block ×4, first 2 shown]
	v_add_f64 v[96:97], v[4:5], -v[96:97]
	v_add_f64 v[80:81], v[66:67], -v[80:81]
	v_fma_f64 v[68:69], v[68:69], 2.0, -v[98:99]
	v_add_f64 v[102:103], v[12:13], -v[102:103]
	v_add_f64 v[72:73], v[92:93], -v[72:73]
	v_fma_f64 v[86:87], v[86:87], 2.0, -v[74:75]
	v_add_f64 v[78:79], v[76:77], v[78:79]
	v_fma_f64 v[82:83], v[82:83], 2.0, -v[104:105]
	v_add_f64 v[70:71], v[110:111], v[70:71]
	;; [unrolled: 2-line block ×3, first 2 shown]
	v_add_f64 v[74:75], v[108:109], v[74:75]
	v_fma_f64 v[88:89], v[186:187], 2.0, -v[76:77]
	v_fma_f64 v[6:7], v[6:7], 2.0, -v[110:111]
	;; [unrolled: 1-line block ×8, first 2 shown]
	v_add_f64 v[80:81], v[96:97], -v[80:81]
	v_fma_f64 v[84:85], v[84:85], 2.0, -v[98:99]
	v_add_f64 v[72:73], v[102:103], -v[72:73]
	v_fma_f64 v[108:109], v[108:109], 2.0, -v[74:75]
	v_fma_f64 v[116:117], s[2:3], v[106:107], v[82:83]
	v_fma_f64 v[4:5], v[4:5], 2.0, -v[96:97]
	v_fma_f64 v[12:13], v[12:13], 2.0, -v[102:103]
	;; [unrolled: 1-line block ×4, first 2 shown]
	v_fma_f64 v[114:115], s[2:3], v[110:111], v[76:77]
	v_fmac_f64_e32 v[116:117], s[2:3], v[110:111]
	v_fma_f64 v[186:187], s[8:9], v[70:71], v[78:79]
	v_fma_f64 v[110:111], s[2:3], v[108:109], v[84:85]
	v_add_f64 v[16:17], v[112:113], -v[16:17]
	v_add_f64 v[94:95], v[6:7], -v[94:95]
	;; [unrolled: 1-line block ×5, first 2 shown]
	v_fmac_f64_e32 v[114:115], s[8:9], v[106:107]
	v_fmac_f64_e32 v[186:187], s[8:9], v[100:101]
	v_fma_f64 v[122:123], s[2:3], v[102:103], v[96:97]
	v_fmac_f64_e32 v[110:111], s[8:9], v[102:103]
	v_fma_f64 v[112:113], v[112:113], 2.0, -v[16:17]
	v_fma_f64 v[6:7], v[6:7], 2.0, -v[94:95]
	v_fma_f64 v[8:9], v[8:9], 2.0, -v[90:91]
	v_fma_f64 v[4:5], v[4:5], 2.0, -v[68:69]
	v_fma_f64 v[12:13], v[12:13], 2.0, -v[86:87]
	v_fma_f64 v[106:107], v[76:77], 2.0, -v[114:115]
	v_add_f64 v[120:121], v[16:17], -v[94:95]
	v_fma_f64 v[94:95], v[78:79], 2.0, -v[186:187]
	v_fmac_f64_e32 v[122:123], s[2:3], v[108:109]
	v_fma_f64 v[78:79], v[84:85], 2.0, -v[110:111]
	v_fma_f64 v[200:201], s[8:9], v[72:73], v[80:81]
	v_add_f64 v[14:15], v[88:89], -v[14:15]
	v_add_f64 v[66:67], v[2:3], -v[66:67]
	;; [unrolled: 1-line block ×4, first 2 shown]
	v_fma_f64 v[82:83], v[82:83], 2.0, -v[116:117]
	v_fma_f64 v[188:189], s[8:9], v[100:101], v[104:105]
	v_add_f64 v[12:13], v[4:5], -v[12:13]
	v_fma_f64 v[84:85], v[96:97], 2.0, -v[122:123]
	v_fma_f64 v[198:199], s[8:9], v[74:75], v[98:99]
	v_fmac_f64_e32 v[200:201], s[2:3], v[74:75]
	v_fma_f64 v[74:75], s[16:17], v[78:79], v[106:107]
	v_fma_f64 v[112:113], v[112:113], 2.0, -v[8:9]
	v_add_f64 v[118:119], v[14:15], v[90:91]
	v_fmac_f64_e32 v[188:189], s[2:3], v[70:71]
	v_fma_f64 v[4:5], v[4:5], 2.0, -v[12:13]
	v_add_f64 v[124:125], v[66:67], v[86:87]
	v_add_f64 v[196:197], v[68:69], -v[92:93]
	v_fmac_f64_e32 v[198:199], s[8:9], v[72:73]
	v_fma_f64 v[76:77], s[16:17], v[84:85], v[82:83]
	v_fmac_f64_e32 v[74:75], s[14:15], v[84:85]
	v_fma_f64 v[108:109], s[14:15], v[122:123], v[116:117]
	v_fma_f64 v[88:89], v[88:89], 2.0, -v[14:15]
	v_fma_f64 v[2:3], v[2:3], 2.0, -v[66:67]
	;; [unrolled: 1-line block ×9, first 2 shown]
	v_add_f64 v[68:69], v[112:113], -v[4:5]
	v_fmac_f64_e32 v[76:77], s[12:13], v[78:79]
	v_fma_f64 v[78:79], v[106:107], 2.0, -v[74:75]
	v_fma_f64 v[106:107], s[14:15], v[110:111], v[114:115]
	v_fmac_f64_e32 v[108:109], s[16:17], v[110:111]
	v_add_f64 v[6:7], v[88:89], -v[6:7]
	v_fma_f64 v[16:17], v[16:17], 2.0, -v[120:121]
	v_add_f64 v[10:11], v[2:3], -v[10:11]
	v_fma_f64 v[72:73], v[112:113], 2.0, -v[68:69]
	v_fma_f64 v[80:81], v[82:83], 2.0, -v[76:77]
	v_fma_f64 v[82:83], s[2:3], v[86:87], v[14:15]
	v_fma_f64 v[92:93], s[12:13], v[98:99], v[100:101]
	v_fmac_f64_e32 v[106:107], s[18:19], v[122:123]
	v_fma_f64 v[112:113], v[116:117], 2.0, -v[108:109]
	v_fma_f64 v[116:117], s[8:9], v[196:197], v[120:121]
	v_fma_f64 v[88:89], v[88:89], 2.0, -v[6:7]
	v_fma_f64 v[2:3], v[2:3], 2.0, -v[10:11]
	v_fma_f64 v[84:85], s[2:3], v[90:91], v[16:17]
	v_fmac_f64_e32 v[82:83], s[8:9], v[90:91]
	v_fma_f64 v[90:91], s[12:13], v[96:97], v[94:95]
	v_fmac_f64_e32 v[92:93], s[16:17], v[96:97]
	v_fma_f64 v[110:111], v[114:115], 2.0, -v[106:107]
	v_fma_f64 v[114:115], s[8:9], v[124:125], v[118:119]
	v_fmac_f64_e32 v[116:117], s[2:3], v[124:125]
	v_fma_f64 v[122:123], s[18:19], v[198:199], v[186:187]
	v_fma_f64 v[124:125], s[18:19], v[200:201], v[188:189]
	v_add_f64 v[66:67], v[88:89], -v[2:3]
	v_fmac_f64_e32 v[84:85], s[2:3], v[86:87]
	v_fmac_f64_e32 v[90:91], s[18:19], v[98:99]
	v_fma_f64 v[96:97], v[100:101], 2.0, -v[92:93]
	v_add_f64 v[98:99], v[6:7], v[12:13]
	v_add_f64 v[100:101], v[8:9], -v[10:11]
	v_fmac_f64_e32 v[114:115], s[8:9], v[196:197]
	v_fmac_f64_e32 v[122:123], s[14:15], v[200:201]
	;; [unrolled: 1-line block ×3, first 2 shown]
	v_fma_f64 v[70:71], v[88:89], 2.0, -v[66:67]
	v_fma_f64 v[86:87], v[14:15], 2.0, -v[82:83]
	;; [unrolled: 1-line block ×10, first 2 shown]
	s_barrier
	ds_write_b128 v224, v[70:73]
	ds_write_b128 v224, v[78:81] offset:256
	ds_write_b128 v224, v[86:89] offset:512
	;; [unrolled: 1-line block ×15, first 2 shown]
	s_waitcnt lgkmcnt(0)
	s_barrier
	ds_read_b128 v[66:69], v1
	ds_read_b128 v[70:73], v1 offset:4096
	ds_read_b128 v[74:77], v1 offset:8192
	ds_read_b128 v[78:81], v1 offset:12288
	ds_read_b128 v[82:85], v1 offset:16384
	ds_read_b128 v[86:89], v1 offset:20480
	ds_read_b128 v[90:93], v1 offset:24576
	ds_read_b128 v[94:97], v1 offset:28672
	ds_read_b128 v[98:101], v1 offset:32768
	ds_read_b128 v[102:105], v1 offset:36864
	ds_read_b128 v[106:109], v1 offset:40960
	ds_read_b128 v[110:113], v1 offset:45056
	ds_read_b128 v[114:117], v1 offset:49152
	ds_read_b128 v[118:121], v1 offset:53248
	ds_read_b128 v[122:125], v1 offset:57344
	ds_read_b128 v[186:189], v1 offset:61440
	s_waitcnt lgkmcnt(14)
	v_mul_f64 v[2:3], v[140:141], v[72:73]
	v_mul_f64 v[4:5], v[140:141], v[70:71]
	s_waitcnt lgkmcnt(13)
	v_mul_f64 v[6:7], v[136:137], v[76:77]
	v_mul_f64 v[8:9], v[136:137], v[74:75]
	;; [unrolled: 3-line block ×3, first 2 shown]
	v_fmac_f64_e32 v[2:3], v[138:139], v[70:71]
	v_fma_f64 v[4:5], v[138:139], v[72:73], -v[4:5]
	v_fmac_f64_e32 v[6:7], v[134:135], v[74:75]
	v_fma_f64 v[8:9], v[134:135], v[76:77], -v[8:9]
	v_fmac_f64_e32 v[10:11], v[130:131], v[78:79]
	v_fma_f64 v[12:13], v[130:131], v[80:81], -v[12:13]
	s_waitcnt lgkmcnt(11)
	v_mul_f64 v[14:15], v[128:129], v[84:85]
	v_mul_f64 v[16:17], v[128:129], v[82:83]
	s_waitcnt lgkmcnt(10)
	v_mul_f64 v[70:71], v[156:157], v[88:89]
	v_mul_f64 v[72:73], v[156:157], v[86:87]
	s_waitcnt lgkmcnt(9)
	v_mul_f64 v[74:75], v[152:153], v[92:93]
	v_mul_f64 v[76:77], v[152:153], v[90:91]
	s_waitcnt lgkmcnt(8)
	v_mul_f64 v[78:79], v[148:149], v[96:97]
	v_mul_f64 v[80:81], v[148:149], v[94:95]
	v_fmac_f64_e32 v[14:15], v[126:127], v[82:83]
	v_fma_f64 v[16:17], v[126:127], v[84:85], -v[16:17]
	v_fmac_f64_e32 v[70:71], v[154:155], v[86:87]
	v_fma_f64 v[72:73], v[154:155], v[88:89], -v[72:73]
	v_fmac_f64_e32 v[74:75], v[150:151], v[90:91]
	v_fma_f64 v[76:77], v[150:151], v[92:93], -v[76:77]
	v_fmac_f64_e32 v[78:79], v[146:147], v[94:95]
	v_fma_f64 v[80:81], v[146:147], v[96:97], -v[80:81]
	s_waitcnt lgkmcnt(7)
	v_mul_f64 v[82:83], v[144:145], v[100:101]
	v_mul_f64 v[84:85], v[144:145], v[98:99]
	s_waitcnt lgkmcnt(6)
	v_mul_f64 v[86:87], v[172:173], v[104:105]
	v_mul_f64 v[88:89], v[172:173], v[102:103]
	s_waitcnt lgkmcnt(5)
	v_mul_f64 v[90:91], v[168:169], v[108:109]
	v_mul_f64 v[92:93], v[168:169], v[106:107]
	s_waitcnt lgkmcnt(4)
	v_mul_f64 v[94:95], v[164:165], v[112:113]
	v_mul_f64 v[96:97], v[164:165], v[110:111]
	v_fmac_f64_e32 v[82:83], v[142:143], v[98:99]
	v_fma_f64 v[84:85], v[142:143], v[100:101], -v[84:85]
	;; [unrolled: 20-line block ×3, first 2 shown]
	v_fmac_f64_e32 v[102:103], v[178:179], v[118:119]
	v_fma_f64 v[104:105], v[178:179], v[120:121], -v[104:105]
	v_fmac_f64_e32 v[106:107], v[174:175], v[122:123]
	v_fma_f64 v[108:109], v[174:175], v[124:125], -v[108:109]
	;; [unrolled: 2-line block ×3, first 2 shown]
	v_add_f64 v[82:83], v[66:67], -v[82:83]
	v_add_f64 v[84:85], v[68:69], -v[84:85]
	;; [unrolled: 1-line block ×16, first 2 shown]
	v_fma_f64 v[14:15], v[14:15], 2.0, -v[98:99]
	v_fma_f64 v[16:17], v[16:17], 2.0, -v[100:101]
	v_fma_f64 v[74:75], v[74:75], 2.0, -v[106:107]
	v_fma_f64 v[76:77], v[76:77], 2.0, -v[108:109]
	v_fma_f64 v[70:71], v[70:71], 2.0, -v[102:103]
	v_fma_f64 v[72:73], v[72:73], 2.0, -v[104:105]
	v_fma_f64 v[78:79], v[78:79], 2.0, -v[110:111]
	v_fma_f64 v[80:81], v[80:81], 2.0, -v[112:113]
	v_add_f64 v[100:101], v[82:83], v[100:101]
	v_add_f64 v[98:99], v[84:85], -v[98:99]
	v_add_f64 v[108:109], v[90:91], v[108:109]
	v_add_f64 v[106:107], v[92:93], -v[106:107]
	;; [unrolled: 2-line block ×4, first 2 shown]
	v_fma_f64 v[66:67], v[66:67], 2.0, -v[82:83]
	v_fma_f64 v[68:69], v[68:69], 2.0, -v[84:85]
	;; [unrolled: 1-line block ×16, first 2 shown]
	v_add_f64 v[14:15], v[66:67], -v[14:15]
	v_add_f64 v[16:17], v[68:69], -v[16:17]
	;; [unrolled: 1-line block ×8, first 2 shown]
	v_fma_f64 v[118:119], s[2:3], v[90:91], v[82:83]
	v_fma_f64 v[120:121], s[2:3], v[92:93], v[84:85]
	v_fma_f64 v[130:131], s[2:3], v[94:95], v[86:87]
	v_fma_f64 v[132:133], s[2:3], v[96:97], v[88:89]
	v_fma_f64 v[66:67], v[66:67], 2.0, -v[14:15]
	v_fma_f64 v[68:69], v[68:69], 2.0, -v[16:17]
	;; [unrolled: 1-line block ×8, first 2 shown]
	v_fmac_f64_e32 v[118:119], s[8:9], v[92:93]
	v_fmac_f64_e32 v[120:121], s[2:3], v[90:91]
	;; [unrolled: 1-line block ×4, first 2 shown]
	v_add_f64 v[6:7], v[66:67], -v[6:7]
	v_add_f64 v[8:9], v[68:69], -v[8:9]
	v_fma_f64 v[82:83], v[82:83], 2.0, -v[118:119]
	v_fma_f64 v[84:85], v[84:85], 2.0, -v[120:121]
	v_add_f64 v[10:11], v[2:3], -v[10:11]
	v_add_f64 v[12:13], v[4:5], -v[12:13]
	v_fma_f64 v[86:87], v[86:87], 2.0, -v[130:131]
	v_fma_f64 v[88:89], v[88:89], 2.0, -v[132:133]
	;; [unrolled: 1-line block ×4, first 2 shown]
	v_add_f64 v[122:123], v[14:15], v[76:77]
	v_add_f64 v[124:125], v[16:17], -v[74:75]
	v_fma_f64 v[126:127], s[8:9], v[108:109], v[100:101]
	v_fma_f64 v[128:129], s[8:9], v[106:107], v[98:99]
	v_fma_f64 v[2:3], v[2:3], 2.0, -v[10:11]
	v_fma_f64 v[4:5], v[4:5], 2.0, -v[12:13]
	v_add_f64 v[134:135], v[70:71], v[80:81]
	v_add_f64 v[136:137], v[72:73], -v[78:79]
	v_fma_f64 v[138:139], s[8:9], v[112:113], v[104:105]
	v_fma_f64 v[140:141], s[8:9], v[110:111], v[102:103]
	;; [unrolled: 1-line block ×4, first 2 shown]
	v_fma_f64 v[14:15], v[14:15], 2.0, -v[122:123]
	v_fma_f64 v[16:17], v[16:17], 2.0, -v[124:125]
	v_fmac_f64_e32 v[126:127], s[8:9], v[106:107]
	v_fmac_f64_e32 v[128:129], s[2:3], v[108:109]
	v_fma_f64 v[90:91], v[70:71], 2.0, -v[134:135]
	v_fma_f64 v[92:93], v[72:73], 2.0, -v[136:137]
	v_fmac_f64_e32 v[138:139], s[8:9], v[110:111]
	v_fmac_f64_e32 v[140:141], s[2:3], v[112:113]
	v_add_f64 v[66:67], v[114:115], -v[2:3]
	v_add_f64 v[68:69], v[116:117], -v[4:5]
	v_fmac_f64_e32 v[74:75], s[14:15], v[88:89]
	v_fmac_f64_e32 v[76:77], s[12:13], v[86:87]
	v_fma_f64 v[100:101], v[100:101], 2.0, -v[126:127]
	v_fma_f64 v[98:99], v[98:99], 2.0, -v[128:129]
	v_fma_f64 v[94:95], v[104:105], 2.0, -v[138:139]
	v_fma_f64 v[96:97], v[102:103], 2.0, -v[140:141]
	v_fma_f64 v[70:71], v[114:115], 2.0, -v[66:67]
	v_fma_f64 v[72:73], v[116:117], 2.0, -v[68:69]
	v_fma_f64 v[78:79], v[82:83], 2.0, -v[74:75]
	v_fma_f64 v[80:81], v[84:85], 2.0, -v[76:77]
	v_fma_f64 v[82:83], s[2:3], v[90:91], v[14:15]
	v_fma_f64 v[84:85], s[2:3], v[92:93], v[16:17]
	;; [unrolled: 1-line block ×6, first 2 shown]
	v_fmac_f64_e32 v[82:83], s[8:9], v[92:93]
	v_fmac_f64_e32 v[84:85], s[2:3], v[90:91]
	v_fma_f64 v[90:91], s[12:13], v[94:95], v[100:101]
	v_fma_f64 v[92:93], s[12:13], v[96:97], v[98:99]
	v_fmac_f64_e32 v[106:107], s[18:19], v[132:133]
	v_fmac_f64_e32 v[108:109], s[16:17], v[130:131]
	;; [unrolled: 1-line block ×6, first 2 shown]
	v_fma_f64 v[110:111], v[118:119], 2.0, -v[106:107]
	v_fma_f64 v[112:113], v[120:121], 2.0, -v[108:109]
	;; [unrolled: 1-line block ×4, first 2 shown]
	v_fma_f64 v[122:123], s[18:19], v[138:139], v[126:127]
	v_fma_f64 v[124:125], s[18:19], v[140:141], v[128:129]
	v_fma_f64 v[94:95], v[100:101], 2.0, -v[90:91]
	v_fma_f64 v[96:97], v[98:99], 2.0, -v[92:93]
	v_add_f64 v[98:99], v[6:7], v[12:13]
	v_add_f64 v[100:101], v[8:9], -v[10:11]
	v_fmac_f64_e32 v[122:123], s[14:15], v[140:141]
	v_fmac_f64_e32 v[124:125], s[12:13], v[138:139]
	v_fma_f64 v[86:87], v[14:15], 2.0, -v[82:83]
	v_fma_f64 v[88:89], v[16:17], 2.0, -v[84:85]
	;; [unrolled: 1-line block ×6, first 2 shown]
	ds_write_b128 v1, v[70:73]
	ds_write_b128 v1, v[78:81] offset:4096
	ds_write_b128 v1, v[86:89] offset:8192
	;; [unrolled: 1-line block ×15, first 2 shown]
	s_waitcnt lgkmcnt(0)
	s_barrier
	ds_read_b128 v[66:69], v1
	ds_read_b128 v[70:73], v1 offset:4096
	v_mov_b32_e32 v190, s0
	v_mov_b32_e32 v191, s1
	v_mad_u64_u32 v[192:193], s[0:1], s6, v222, 0
	v_mov_b32_e32 v194, v193
	v_accvgpr_read_b32 v4, a12
	v_mad_u64_u32 v[2:3], s[0:1], s7, v222, v[194:195]
	v_accvgpr_read_b32 v6, a14
	v_accvgpr_read_b32 v7, a15
	v_mov_b32_e32 v193, v2
	v_accvgpr_read_b32 v5, a13
	s_waitcnt lgkmcnt(1)
	v_mul_f64 v[2:3], v[6:7], v[68:69]
	v_fmac_f64_e32 v[2:3], v[4:5], v[66:67]
	v_ldexp_f64 v[74:75], v[2:3], -12
	v_mul_f64 v[2:3], v[6:7], v[66:67]
	v_fma_f64 v[2:3], v[4:5], v[68:69], -v[2:3]
	v_ldexp_f64 v[76:77], v[2:3], -12
	v_mad_u64_u32 v[2:3], s[0:1], s4, v0, 0
	v_mov_b32_e32 v4, v3
	v_mad_u64_u32 v[4:5], s[0:1], s5, v0, v[4:5]
	v_mov_b32_e32 v3, v4
	v_lshl_add_u64 v[4:5], v[192:193], 4, v[190:191]
	v_lshl_add_u64 v[6:7], v[2:3], 4, v[4:5]
	s_waitcnt lgkmcnt(0)
	v_mul_f64 v[2:3], v[28:29], v[72:73]
	v_mul_f64 v[4:5], v[28:29], v[70:71]
	v_fmac_f64_e32 v[2:3], v[26:27], v[70:71]
	v_fma_f64 v[4:5], v[26:27], v[72:73], -v[4:5]
	ds_read_b128 v[26:29], v1 offset:8192
	s_lshl_b64 s[0:1], s[4:5], 12
	global_store_dwordx4 v[6:7], v[74:77], off
	v_ldexp_f64 v[2:3], v[2:3], -12
	v_ldexp_f64 v[4:5], v[4:5], -12
	v_lshl_add_u64 v[6:7], v[6:7], 0, s[0:1]
	global_store_dwordx4 v[6:7], v[2:5], off
	ds_read_b128 v[2:5], v1 offset:12288
	v_accvgpr_read_b32 v13, a11
	v_accvgpr_read_b32 v12, a10
	;; [unrolled: 1-line block ×4, first 2 shown]
	s_waitcnt lgkmcnt(1)
	v_mul_f64 v[8:9], v[12:13], v[28:29]
	v_fmac_f64_e32 v[8:9], v[10:11], v[26:27]
	v_ldexp_f64 v[66:67], v[8:9], -12
	v_mul_f64 v[8:9], v[12:13], v[26:27]
	v_fma_f64 v[8:9], v[10:11], v[28:29], -v[8:9]
	v_lshl_add_u64 v[10:11], v[6:7], 0, s[0:1]
	s_waitcnt lgkmcnt(0)
	v_mul_f64 v[6:7], v[44:45], v[4:5]
	v_fmac_f64_e32 v[6:7], v[42:43], v[2:3]
	v_mul_f64 v[2:3], v[44:45], v[2:3]
	v_ldexp_f64 v[68:69], v[8:9], -12
	v_fma_f64 v[8:9], v[42:43], v[4:5], -v[2:3]
	ds_read_b128 v[2:5], v1 offset:16384
	global_store_dwordx4 v[10:11], v[66:69], off
	v_ldexp_f64 v[6:7], v[6:7], -12
	v_ldexp_f64 v[8:9], v[8:9], -12
	v_lshl_add_u64 v[10:11], v[10:11], 0, s[0:1]
	global_store_dwordx4 v[10:11], v[6:9], off
	ds_read_b128 v[6:9], v1 offset:20480
	v_accvgpr_read_b32 v17, a7
	v_accvgpr_read_b32 v16, a6
	;; [unrolled: 1-line block ×4, first 2 shown]
	s_waitcnt lgkmcnt(1)
	v_mul_f64 v[12:13], v[16:17], v[4:5]
	v_fmac_f64_e32 v[12:13], v[14:15], v[2:3]
	v_mul_f64 v[2:3], v[16:17], v[2:3]
	v_fma_f64 v[2:3], v[14:15], v[4:5], -v[2:3]
	v_ldexp_f64 v[28:29], v[2:3], -12
	s_waitcnt lgkmcnt(0)
	v_mul_f64 v[2:3], v[32:33], v[8:9]
	v_mul_f64 v[4:5], v[32:33], v[6:7]
	v_fmac_f64_e32 v[2:3], v[30:31], v[6:7]
	v_fma_f64 v[4:5], v[30:31], v[8:9], -v[4:5]
	ds_read_b128 v[6:9], v1 offset:24576
	v_lshl_add_u64 v[10:11], v[10:11], 0, s[0:1]
	v_ldexp_f64 v[26:27], v[12:13], -12
	v_ldexp_f64 v[2:3], v[2:3], -12
	;; [unrolled: 1-line block ×3, first 2 shown]
	v_lshl_add_u64 v[14:15], v[10:11], 0, s[0:1]
	global_store_dwordx4 v[10:11], v[26:29], off
	global_store_dwordx4 v[14:15], v[2:5], off
	ds_read_b128 v[2:5], v1 offset:28672
	v_accvgpr_read_b32 v29, a3
	v_accvgpr_read_b32 v28, a2
	;; [unrolled: 1-line block ×4, first 2 shown]
	s_waitcnt lgkmcnt(1)
	v_mul_f64 v[10:11], v[28:29], v[8:9]
	v_fmac_f64_e32 v[10:11], v[26:27], v[6:7]
	v_mul_f64 v[6:7], v[28:29], v[6:7]
	v_fma_f64 v[6:7], v[26:27], v[8:9], -v[6:7]
	v_ldexp_f64 v[12:13], v[6:7], -12
	s_waitcnt lgkmcnt(0)
	v_mul_f64 v[6:7], v[36:37], v[4:5]
	v_fmac_f64_e32 v[6:7], v[34:35], v[2:3]
	v_mul_f64 v[2:3], v[36:37], v[2:3]
	v_fma_f64 v[8:9], v[34:35], v[4:5], -v[2:3]
	ds_read_b128 v[2:5], v1 offset:32768
	v_ldexp_f64 v[10:11], v[10:11], -12
	v_lshl_add_u64 v[14:15], v[14:15], 0, s[0:1]
	global_store_dwordx4 v[14:15], v[10:13], off
	v_ldexp_f64 v[6:7], v[6:7], -12
	v_ldexp_f64 v[8:9], v[8:9], -12
	v_lshl_add_u64 v[14:15], v[14:15], 0, s[0:1]
	global_store_dwordx4 v[14:15], v[6:9], off
	ds_read_b128 v[6:9], v1 offset:36864
	s_waitcnt lgkmcnt(1)
	v_mul_f64 v[10:11], v[20:21], v[4:5]
	v_fmac_f64_e32 v[10:11], v[18:19], v[2:3]
	v_mul_f64 v[2:3], v[20:21], v[2:3]
	v_fma_f64 v[2:3], v[18:19], v[4:5], -v[2:3]
	v_ldexp_f64 v[12:13], v[2:3], -12
	s_waitcnt lgkmcnt(0)
	v_mul_f64 v[2:3], v[48:49], v[8:9]
	v_mul_f64 v[4:5], v[48:49], v[6:7]
	v_fmac_f64_e32 v[2:3], v[46:47], v[6:7]
	v_fma_f64 v[4:5], v[46:47], v[8:9], -v[4:5]
	ds_read_b128 v[6:9], v1 offset:40960
	v_ldexp_f64 v[10:11], v[10:11], -12
	v_lshl_add_u64 v[14:15], v[14:15], 0, s[0:1]
	global_store_dwordx4 v[14:15], v[10:13], off
	v_ldexp_f64 v[2:3], v[2:3], -12
	v_ldexp_f64 v[4:5], v[4:5], -12
	v_lshl_add_u64 v[14:15], v[14:15], 0, s[0:1]
	global_store_dwordx4 v[14:15], v[2:5], off
	ds_read_b128 v[2:5], v1 offset:45056
	s_waitcnt lgkmcnt(1)
	v_mul_f64 v[10:11], v[24:25], v[8:9]
	v_fmac_f64_e32 v[10:11], v[22:23], v[6:7]
	v_mul_f64 v[6:7], v[24:25], v[6:7]
	v_fma_f64 v[6:7], v[22:23], v[8:9], -v[6:7]
	v_ldexp_f64 v[12:13], v[6:7], -12
	s_waitcnt lgkmcnt(0)
	v_mul_f64 v[6:7], v[56:57], v[4:5]
	v_fmac_f64_e32 v[6:7], v[54:55], v[2:3]
	v_mul_f64 v[2:3], v[56:57], v[2:3]
	v_fma_f64 v[8:9], v[54:55], v[4:5], -v[2:3]
	ds_read_b128 v[2:5], v1 offset:49152
	v_ldexp_f64 v[10:11], v[10:11], -12
	v_lshl_add_u64 v[14:15], v[14:15], 0, s[0:1]
	global_store_dwordx4 v[14:15], v[10:13], off
	v_ldexp_f64 v[6:7], v[6:7], -12
	v_ldexp_f64 v[8:9], v[8:9], -12
	v_lshl_add_u64 v[14:15], v[14:15], 0, s[0:1]
	global_store_dwordx4 v[14:15], v[6:9], off
	ds_read_b128 v[6:9], v1 offset:53248
	s_waitcnt lgkmcnt(1)
	v_mul_f64 v[10:11], v[40:41], v[4:5]
	v_fmac_f64_e32 v[10:11], v[38:39], v[2:3]
	v_mul_f64 v[2:3], v[40:41], v[2:3]
	v_fma_f64 v[2:3], v[38:39], v[4:5], -v[2:3]
	v_ldexp_f64 v[12:13], v[2:3], -12
	s_waitcnt lgkmcnt(0)
	v_mul_f64 v[2:3], v[60:61], v[8:9]
	v_mul_f64 v[4:5], v[60:61], v[6:7]
	v_fmac_f64_e32 v[2:3], v[58:59], v[6:7]
	v_fma_f64 v[4:5], v[58:59], v[8:9], -v[4:5]
	ds_read_b128 v[6:9], v1 offset:57344
	v_ldexp_f64 v[10:11], v[10:11], -12
	v_lshl_add_u64 v[14:15], v[14:15], 0, s[0:1]
	global_store_dwordx4 v[14:15], v[10:13], off
	v_ldexp_f64 v[2:3], v[2:3], -12
	v_ldexp_f64 v[4:5], v[4:5], -12
	v_lshl_add_u64 v[10:11], v[14:15], 0, s[0:1]
	global_store_dwordx4 v[10:11], v[2:5], off
	ds_read_b128 v[0:3], v1 offset:61440
	s_waitcnt lgkmcnt(1)
	v_mul_f64 v[4:5], v[52:53], v[8:9]
	v_fmac_f64_e32 v[4:5], v[50:51], v[6:7]
	v_mul_f64 v[6:7], v[52:53], v[6:7]
	v_fma_f64 v[6:7], v[50:51], v[8:9], -v[6:7]
	v_ldexp_f64 v[4:5], v[4:5], -12
	v_ldexp_f64 v[6:7], v[6:7], -12
	v_lshl_add_u64 v[8:9], v[10:11], 0, s[0:1]
	global_store_dwordx4 v[8:9], v[4:7], off
	s_waitcnt lgkmcnt(0)
	s_nop 0
	v_mul_f64 v[4:5], v[64:65], v[2:3]
	v_fmac_f64_e32 v[4:5], v[62:63], v[0:1]
	v_mul_f64 v[0:1], v[64:65], v[0:1]
	v_fma_f64 v[0:1], v[62:63], v[2:3], -v[0:1]
	v_ldexp_f64 v[4:5], v[4:5], -12
	v_ldexp_f64 v[6:7], v[0:1], -12
	v_lshl_add_u64 v[0:1], v[8:9], 0, s[0:1]
	global_store_dwordx4 v[0:1], v[4:7], off
.LBB0_2:
	s_endpgm
	.section	.rodata,"a",@progbits
	.p2align	6, 0x0
	.amdhsa_kernel bluestein_single_back_len4096_dim1_dp_op_CI_CI
		.amdhsa_group_segment_fixed_size 65536
		.amdhsa_private_segment_fixed_size 0
		.amdhsa_kernarg_size 104
		.amdhsa_user_sgpr_count 2
		.amdhsa_user_sgpr_dispatch_ptr 0
		.amdhsa_user_sgpr_queue_ptr 0
		.amdhsa_user_sgpr_kernarg_segment_ptr 1
		.amdhsa_user_sgpr_dispatch_id 0
		.amdhsa_user_sgpr_kernarg_preload_length 0
		.amdhsa_user_sgpr_kernarg_preload_offset 0
		.amdhsa_user_sgpr_private_segment_size 0
		.amdhsa_uses_dynamic_stack 0
		.amdhsa_enable_private_segment 0
		.amdhsa_system_sgpr_workgroup_id_x 1
		.amdhsa_system_sgpr_workgroup_id_y 0
		.amdhsa_system_sgpr_workgroup_id_z 0
		.amdhsa_system_sgpr_workgroup_info 0
		.amdhsa_system_vgpr_workitem_id 0
		.amdhsa_next_free_vgpr 274
		.amdhsa_next_free_sgpr 23
		.amdhsa_accum_offset 256
		.amdhsa_reserve_vcc 1
		.amdhsa_float_round_mode_32 0
		.amdhsa_float_round_mode_16_64 0
		.amdhsa_float_denorm_mode_32 3
		.amdhsa_float_denorm_mode_16_64 3
		.amdhsa_dx10_clamp 1
		.amdhsa_ieee_mode 1
		.amdhsa_fp16_overflow 0
		.amdhsa_tg_split 0
		.amdhsa_exception_fp_ieee_invalid_op 0
		.amdhsa_exception_fp_denorm_src 0
		.amdhsa_exception_fp_ieee_div_zero 0
		.amdhsa_exception_fp_ieee_overflow 0
		.amdhsa_exception_fp_ieee_underflow 0
		.amdhsa_exception_fp_ieee_inexact 0
		.amdhsa_exception_int_div_zero 0
	.end_amdhsa_kernel
	.text
.Lfunc_end0:
	.size	bluestein_single_back_len4096_dim1_dp_op_CI_CI, .Lfunc_end0-bluestein_single_back_len4096_dim1_dp_op_CI_CI
                                        ; -- End function
	.section	.AMDGPU.csdata,"",@progbits
; Kernel info:
; codeLenInByte = 14296
; NumSgprs: 29
; NumVgprs: 256
; NumAgprs: 18
; TotalNumVgprs: 274
; ScratchSize: 0
; MemoryBound: 0
; FloatMode: 240
; IeeeMode: 1
; LDSByteSize: 65536 bytes/workgroup (compile time only)
; SGPRBlocks: 3
; VGPRBlocks: 34
; NumSGPRsForWavesPerEU: 29
; NumVGPRsForWavesPerEU: 274
; AccumOffset: 256
; Occupancy: 1
; WaveLimiterHint : 1
; COMPUTE_PGM_RSRC2:SCRATCH_EN: 0
; COMPUTE_PGM_RSRC2:USER_SGPR: 2
; COMPUTE_PGM_RSRC2:TRAP_HANDLER: 0
; COMPUTE_PGM_RSRC2:TGID_X_EN: 1
; COMPUTE_PGM_RSRC2:TGID_Y_EN: 0
; COMPUTE_PGM_RSRC2:TGID_Z_EN: 0
; COMPUTE_PGM_RSRC2:TIDIG_COMP_CNT: 0
; COMPUTE_PGM_RSRC3_GFX90A:ACCUM_OFFSET: 63
; COMPUTE_PGM_RSRC3_GFX90A:TG_SPLIT: 0
	.text
	.p2alignl 6, 3212836864
	.fill 256, 4, 3212836864
	.type	__hip_cuid_b5d5992278ef3ddf,@object ; @__hip_cuid_b5d5992278ef3ddf
	.section	.bss,"aw",@nobits
	.globl	__hip_cuid_b5d5992278ef3ddf
__hip_cuid_b5d5992278ef3ddf:
	.byte	0                               ; 0x0
	.size	__hip_cuid_b5d5992278ef3ddf, 1

	.ident	"AMD clang version 19.0.0git (https://github.com/RadeonOpenCompute/llvm-project roc-6.4.0 25133 c7fe45cf4b819c5991fe208aaa96edf142730f1d)"
	.section	".note.GNU-stack","",@progbits
	.addrsig
	.addrsig_sym __hip_cuid_b5d5992278ef3ddf
	.amdgpu_metadata
---
amdhsa.kernels:
  - .agpr_count:     18
    .args:
      - .actual_access:  read_only
        .address_space:  global
        .offset:         0
        .size:           8
        .value_kind:     global_buffer
      - .actual_access:  read_only
        .address_space:  global
        .offset:         8
        .size:           8
        .value_kind:     global_buffer
      - .actual_access:  read_only
        .address_space:  global
        .offset:         16
        .size:           8
        .value_kind:     global_buffer
      - .actual_access:  read_only
        .address_space:  global
        .offset:         24
        .size:           8
        .value_kind:     global_buffer
      - .actual_access:  read_only
        .address_space:  global
        .offset:         32
        .size:           8
        .value_kind:     global_buffer
      - .offset:         40
        .size:           8
        .value_kind:     by_value
      - .address_space:  global
        .offset:         48
        .size:           8
        .value_kind:     global_buffer
      - .address_space:  global
        .offset:         56
        .size:           8
        .value_kind:     global_buffer
      - .address_space:  global
        .offset:         64
        .size:           8
        .value_kind:     global_buffer
      - .address_space:  global
        .offset:         72
        .size:           8
        .value_kind:     global_buffer
      - .offset:         80
        .size:           4
        .value_kind:     by_value
      - .address_space:  global
        .offset:         88
        .size:           8
        .value_kind:     global_buffer
      - .address_space:  global
        .offset:         96
        .size:           8
        .value_kind:     global_buffer
    .group_segment_fixed_size: 65536
    .kernarg_segment_align: 8
    .kernarg_segment_size: 104
    .language:       OpenCL C
    .language_version:
      - 2
      - 0
    .max_flat_workgroup_size: 256
    .name:           bluestein_single_back_len4096_dim1_dp_op_CI_CI
    .private_segment_fixed_size: 0
    .sgpr_count:     29
    .sgpr_spill_count: 0
    .symbol:         bluestein_single_back_len4096_dim1_dp_op_CI_CI.kd
    .uniform_work_group_size: 1
    .uses_dynamic_stack: false
    .vgpr_count:     274
    .vgpr_spill_count: 0
    .wavefront_size: 64
amdhsa.target:   amdgcn-amd-amdhsa--gfx950
amdhsa.version:
  - 1
  - 2
...

	.end_amdgpu_metadata
